;; amdgpu-corpus repo=ROCm/rocFFT kind=compiled arch=gfx906 opt=O3
	.text
	.amdgcn_target "amdgcn-amd-amdhsa--gfx906"
	.amdhsa_code_object_version 6
	.protected	bluestein_single_back_len1600_dim1_half_op_CI_CI ; -- Begin function bluestein_single_back_len1600_dim1_half_op_CI_CI
	.globl	bluestein_single_back_len1600_dim1_half_op_CI_CI
	.p2align	8
	.type	bluestein_single_back_len1600_dim1_half_op_CI_CI,@function
bluestein_single_back_len1600_dim1_half_op_CI_CI: ; @bluestein_single_back_len1600_dim1_half_op_CI_CI
; %bb.0:
	s_load_dwordx4 s[8:11], s[4:5], 0x28
	v_mul_u32_u24_e32 v1, 0x290, v0
	v_lshrrev_b32_e32 v4, 16, v1
	v_lshl_add_u32 v33, s6, 1, v4
	v_mov_b32_e32 v34, 0
	s_waitcnt lgkmcnt(0)
	v_cmp_gt_u64_e32 vcc, s[8:9], v[33:34]
	s_and_saveexec_b64 s[0:1], vcc
	s_cbranch_execz .LBB0_23
; %bb.1:
	s_load_dwordx4 s[0:3], s[4:5], 0x18
	v_mul_lo_u16_e32 v1, 0x64, v4
	v_sub_u16_e32 v65, v0, v1
	v_lshlrev_b32_e32 v12, 2, v65
	v_or_b32_e32 v60, 0x280, v65
	s_waitcnt lgkmcnt(0)
	s_load_dwordx4 s[12:15], s[0:1], 0x0
	v_mov_b32_e32 v15, 0x500
	v_or_b32_e32 v56, 0x500, v65
	s_movk_i32 s7, 0x1000
	v_lshlrev_b32_e32 v44, 2, v56
	s_waitcnt lgkmcnt(0)
	v_mad_u64_u32 v[0:1], s[0:1], s14, v33, 0
	v_mad_u64_u32 v[2:3], s[0:1], s12, v65, 0
	s_mul_i32 s6, s13, 0x500
	v_mad_u64_u32 v[5:6], s[0:1], s15, v33, v[1:2]
	v_mad_u64_u32 v[6:7], s[0:1], s13, v65, v[3:4]
	v_mov_b32_e32 v1, v5
	v_lshlrev_b64 v[0:1], 2, v[0:1]
	s_load_dwordx2 s[14:15], s[4:5], 0x0
	v_mov_b32_e32 v7, s11
	v_mov_b32_e32 v3, v6
	v_add_co_u32_e32 v9, vcc, s10, v0
	v_addc_co_u32_e32 v10, vcc, v7, v1, vcc
	v_lshlrev_b64 v[0:1], 2, v[2:3]
	s_mul_i32 s0, s13, 0xa0
	v_add_co_u32_e32 v0, vcc, v9, v0
	v_addc_co_u32_e32 v1, vcc, v10, v1, vcc
	s_mul_hi_u32 s1, s12, 0xa0
	s_waitcnt lgkmcnt(0)
	v_mov_b32_e32 v2, s15
	v_add_co_u32_e32 v31, vcc, s14, v12
	s_add_i32 s1, s1, s0
	s_mul_i32 s0, s12, 0xa0
	v_addc_co_u32_e32 v32, vcc, 0, v2, vcc
	s_lshl_b64 s[16:17], s[0:1], 2
	v_mad_u64_u32 v[2:3], s[0:1], s12, v60, 0
	global_load_dword v11, v[0:1], off
	v_mov_b32_e32 v13, s17
	v_add_co_u32_e32 v0, vcc, s16, v0
	global_load_dword v67, v12, s[14:15]
	v_addc_co_u32_e32 v1, vcc, v1, v13, vcc
	global_load_dword v14, v[0:1], off
	v_mad_u64_u32 v[7:8], s[0:1], s13, v60, v[3:4]
	v_add_co_u32_e32 v0, vcc, s16, v0
	v_addc_co_u32_e32 v1, vcc, v1, v13, vcc
	global_load_dword v66, v12, s[14:15] offset:640
	global_load_dword v64, v12, s[14:15] offset:1280
	;; [unrolled: 1-line block ×3, first 2 shown]
	v_mov_b32_e32 v3, v7
	global_load_dword v16, v[0:1], off
	v_add_co_u32_e32 v5, vcc, s16, v0
	v_lshlrev_b64 v[2:3], 2, v[2:3]
	v_addc_co_u32_e32 v6, vcc, v1, v13, vcc
	v_add_co_u32_e32 v2, vcc, v9, v2
	v_mad_u64_u32 v[0:1], s[0:1], s12, v15, v[5:6]
	v_addc_co_u32_e32 v3, vcc, v10, v3, vcc
	global_load_dword v17, v[5:6], off
	global_load_dword v18, v[2:3], off
	v_add_u32_e32 v1, s6, v1
	v_mad_u64_u32 v[2:3], s[0:1], s12, v56, 0
	global_load_dword v19, v[0:1], off
	v_add_co_u32_e32 v0, vcc, s16, v0
	v_addc_co_u32_e32 v1, vcc, v1, v13, vcc
	global_load_dword v20, v[0:1], off
	global_load_dword v62, v12, s[14:15] offset:2560
	global_load_dword v61, v12, s[14:15] offset:3200
	;; [unrolled: 1-line block ×3, first 2 shown]
	v_add_co_u32_e32 v5, vcc, s16, v0
	v_mov_b32_e32 v0, v3
	v_mad_u64_u32 v[7:8], s[0:1], s13, v56, v[0:1]
	v_addc_co_u32_e32 v6, vcc, v1, v13, vcc
	v_add_co_u32_e32 v0, vcc, s7, v31
	v_mov_b32_e32 v3, v7
	global_load_dword v13, v[5:6], off
	v_addc_co_u32_e32 v1, vcc, 0, v32, vcc
	v_lshlrev_b64 v[2:3], 2, v[2:3]
	global_load_dword v58, v[0:1], off offset:384
	global_load_dword v57, v44, s[14:15]
	v_add_co_u32_e32 v2, vcc, v9, v2
	v_addc_co_u32_e32 v3, vcc, v10, v3, vcc
	global_load_dword v7, v[2:3], off
	v_mad_u64_u32 v[2:3], s[0:1], s12, v15, v[5:6]
	v_and_b32_e32 v4, 1, v4
	v_mov_b32_e32 v5, 0x1900
	v_add_u32_e32 v3, s6, v3
	global_load_dword v8, v[2:3], off
	global_load_dword v55, v[0:1], off offset:1664
	v_cmp_eq_u32_e32 vcc, 1, v4
	v_cndmask_b32_e32 v68, 0, v5, vcc
	v_add_u32_e32 v54, v68, v12
	s_load_dwordx2 s[6:7], s[4:5], 0x38
	s_load_dwordx4 s[8:11], s[2:3], 0x0
	v_cmp_gt_u16_e64 s[0:1], 60, v65
	s_waitcnt vmcnt(19)
	v_lshrrev_b32_e32 v4, 16, v11
	s_waitcnt vmcnt(18)
	v_mul_f16_sdwa v5, v67, v4 dst_sel:DWORD dst_unused:UNUSED_PAD src0_sel:WORD_1 src1_sel:DWORD
	v_mul_f16_sdwa v6, v67, v11 dst_sel:DWORD dst_unused:UNUSED_PAD src0_sel:WORD_1 src1_sel:DWORD
	v_fma_f16 v5, v67, v11, v5
	v_fma_f16 v4, v67, v4, -v6
	v_pack_b32_f16 v4, v5, v4
	s_waitcnt vmcnt(17)
	v_lshrrev_b32_e32 v5, 16, v14
	s_waitcnt vmcnt(16)
	v_mul_f16_sdwa v6, v66, v5 dst_sel:DWORD dst_unused:UNUSED_PAD src0_sel:WORD_1 src1_sel:DWORD
	v_mul_f16_sdwa v9, v66, v14 dst_sel:DWORD dst_unused:UNUSED_PAD src0_sel:WORD_1 src1_sel:DWORD
	v_fma_f16 v6, v66, v14, v6
	v_fma_f16 v5, v66, v5, -v9
	v_pack_b32_f16 v5, v6, v5
	ds_write2_b32 v54, v4, v5 offset1:160
	s_waitcnt vmcnt(13)
	v_lshrrev_b32_e32 v4, 16, v16
	v_mul_f16_sdwa v5, v64, v4 dst_sel:DWORD dst_unused:UNUSED_PAD src0_sel:WORD_1 src1_sel:DWORD
	v_mul_f16_sdwa v6, v64, v16 dst_sel:DWORD dst_unused:UNUSED_PAD src0_sel:WORD_1 src1_sel:DWORD
	v_fma_f16 v5, v64, v16, v5
	v_fma_f16 v4, v64, v4, -v6
	v_pack_b32_f16 v5, v5, v4
	s_waitcnt vmcnt(12)
	v_lshrrev_b32_e32 v4, 16, v17
	v_mul_f16_sdwa v6, v63, v4 dst_sel:DWORD dst_unused:UNUSED_PAD src0_sel:WORD_1 src1_sel:DWORD
	v_mul_f16_sdwa v9, v63, v17 dst_sel:DWORD dst_unused:UNUSED_PAD src0_sel:WORD_1 src1_sel:DWORD
	v_fma_f16 v6, v63, v17, v6
	v_fma_f16 v4, v63, v4, -v9
	v_pack_b32_f16 v6, v6, v4
	v_add_u32_e32 v4, 0x400, v54
	ds_write2_b32 v4, v5, v6 offset0:64 offset1:224
	s_waitcnt vmcnt(11)
	v_lshrrev_b32_e32 v5, 16, v18
	s_waitcnt vmcnt(8)
	v_mul_f16_sdwa v6, v62, v5 dst_sel:DWORD dst_unused:UNUSED_PAD src0_sel:WORD_1 src1_sel:DWORD
	v_mul_f16_sdwa v9, v62, v18 dst_sel:DWORD dst_unused:UNUSED_PAD src0_sel:WORD_1 src1_sel:DWORD
	v_fma_f16 v6, v62, v18, v6
	v_fma_f16 v5, v62, v5, -v9
	v_pack_b32_f16 v6, v6, v5
	v_lshrrev_b32_e32 v5, 16, v19
	s_waitcnt vmcnt(7)
	v_mul_f16_sdwa v9, v61, v5 dst_sel:DWORD dst_unused:UNUSED_PAD src0_sel:WORD_1 src1_sel:DWORD
	v_mul_f16_sdwa v10, v61, v19 dst_sel:DWORD dst_unused:UNUSED_PAD src0_sel:WORD_1 src1_sel:DWORD
	v_fma_f16 v9, v61, v19, v9
	v_fma_f16 v5, v61, v5, -v10
	v_pack_b32_f16 v9, v9, v5
	v_add_u32_e32 v5, 0xa00, v54
	ds_write2_b32 v5, v6, v9 offset1:160
	v_lshrrev_b32_e32 v6, 16, v20
	s_waitcnt vmcnt(6)
	v_mul_f16_sdwa v9, v59, v6 dst_sel:DWORD dst_unused:UNUSED_PAD src0_sel:WORD_1 src1_sel:DWORD
	v_mul_f16_sdwa v10, v59, v20 dst_sel:DWORD dst_unused:UNUSED_PAD src0_sel:WORD_1 src1_sel:DWORD
	v_fma_f16 v9, v59, v20, v9
	v_fma_f16 v6, v59, v6, -v10
	v_pack_b32_f16 v9, v9, v6
	s_waitcnt vmcnt(5)
	v_lshrrev_b32_e32 v6, 16, v13
	s_waitcnt vmcnt(4)
	v_mul_f16_sdwa v10, v58, v6 dst_sel:DWORD dst_unused:UNUSED_PAD src0_sel:WORD_1 src1_sel:DWORD
	v_mul_f16_sdwa v11, v58, v13 dst_sel:DWORD dst_unused:UNUSED_PAD src0_sel:WORD_1 src1_sel:DWORD
	v_fma_f16 v10, v58, v13, v10
	v_fma_f16 v6, v58, v6, -v11
	v_pack_b32_f16 v10, v10, v6
	v_add_u32_e32 v6, 0xe00, v54
	ds_write2_b32 v6, v9, v10 offset0:64 offset1:224
	s_waitcnt vmcnt(2)
	v_lshrrev_b32_e32 v9, 16, v7
	v_mul_f16_sdwa v10, v57, v9 dst_sel:DWORD dst_unused:UNUSED_PAD src0_sel:WORD_1 src1_sel:DWORD
	v_fma_f16 v10, v57, v7, v10
	v_mul_f16_sdwa v7, v57, v7 dst_sel:DWORD dst_unused:UNUSED_PAD src0_sel:WORD_1 src1_sel:DWORD
	v_fma_f16 v7, v57, v9, -v7
	v_pack_b32_f16 v9, v10, v7
	s_waitcnt vmcnt(1)
	v_lshrrev_b32_e32 v7, 16, v8
	s_waitcnt vmcnt(0)
	v_mul_f16_sdwa v10, v55, v7 dst_sel:DWORD dst_unused:UNUSED_PAD src0_sel:WORD_1 src1_sel:DWORD
	v_fma_f16 v10, v55, v8, v10
	v_mul_f16_sdwa v8, v55, v8 dst_sel:DWORD dst_unused:UNUSED_PAD src0_sel:WORD_1 src1_sel:DWORD
	v_fma_f16 v7, v55, v7, -v8
	v_pack_b32_f16 v8, v10, v7
	v_add_u32_e32 v7, 0x1400, v54
	ds_write2_b32 v7, v9, v8 offset1:160
	s_and_saveexec_b64 s[2:3], s[0:1]
	s_cbranch_execz .LBB0_3
; %bb.2:
	v_mov_b32_e32 v8, 0xffffeb10
	v_mad_u64_u32 v[2:3], s[18:19], s12, v8, v[2:3]
	s_mulk_i32 s13, 0xeb10
	s_sub_i32 s12, s13, s12
	v_add_u32_e32 v3, s12, v3
	global_load_dword v8, v[2:3], off
	global_load_dword v9, v[31:32], off offset:400
	v_mov_b32_e32 v10, s17
	v_add_co_u32_e32 v2, vcc, s16, v2
	v_addc_co_u32_e32 v3, vcc, v3, v10, vcc
	global_load_dword v11, v[2:3], off
	global_load_dword v12, v[31:32], off offset:1040
	v_add_co_u32_e32 v2, vcc, s16, v2
	v_addc_co_u32_e32 v3, vcc, v3, v10, vcc
	global_load_dword v13, v[2:3], off
	global_load_dword v14, v[31:32], off offset:1680
	;; [unrolled: 4-line block ×9, first 2 shown]
	v_add_u32_e32 v0, 0x100, v54
	v_add_u32_e32 v1, 0x600, v54
	s_waitcnt vmcnt(19)
	v_lshrrev_b32_e32 v2, 16, v8
	s_waitcnt vmcnt(18)
	v_mul_f16_sdwa v3, v9, v8 dst_sel:DWORD dst_unused:UNUSED_PAD src0_sel:WORD_1 src1_sel:DWORD
	v_mul_f16_sdwa v28, v9, v2 dst_sel:DWORD dst_unused:UNUSED_PAD src0_sel:WORD_1 src1_sel:DWORD
	v_fma_f16 v2, v9, v2, -v3
	v_fma_f16 v8, v9, v8, v28
	v_pack_b32_f16 v2, v8, v2
	s_waitcnt vmcnt(17)
	v_lshrrev_b32_e32 v3, 16, v11
	s_waitcnt vmcnt(16)
	v_mul_f16_sdwa v29, v12, v11 dst_sel:DWORD dst_unused:UNUSED_PAD src0_sel:WORD_1 src1_sel:DWORD
	v_mul_f16_sdwa v9, v12, v3 dst_sel:DWORD dst_unused:UNUSED_PAD src0_sel:WORD_1 src1_sel:DWORD
	v_fma_f16 v3, v12, v3, -v29
	v_fma_f16 v8, v12, v11, v9
	s_waitcnt vmcnt(15)
	v_lshrrev_b32_e32 v28, 16, v13
	s_waitcnt vmcnt(14)
	v_mul_f16_sdwa v29, v14, v13 dst_sel:DWORD dst_unused:UNUSED_PAD src0_sel:WORD_1 src1_sel:DWORD
	v_mul_f16_sdwa v9, v14, v28 dst_sel:DWORD dst_unused:UNUSED_PAD src0_sel:WORD_1 src1_sel:DWORD
	v_fma_f16 v11, v14, v28, -v29
	v_pack_b32_f16 v3, v8, v3
	s_waitcnt vmcnt(13)
	v_lshrrev_b32_e32 v12, 16, v15
	s_waitcnt vmcnt(12)
	v_mul_f16_sdwa v28, v16, v15 dst_sel:DWORD dst_unused:UNUSED_PAD src0_sel:WORD_1 src1_sel:DWORD
	v_fma_f16 v8, v14, v13, v9
	v_mul_f16_sdwa v9, v16, v12 dst_sel:DWORD dst_unused:UNUSED_PAD src0_sel:WORD_1 src1_sel:DWORD
	v_fma_f16 v12, v16, v12, -v28
	ds_write2_b32 v0, v2, v3 offset0:36 offset1:196
	v_fma_f16 v2, v16, v15, v9
	s_waitcnt vmcnt(11)
	v_lshrrev_b32_e32 v13, 16, v17
	v_pack_b32_f16 v0, v8, v11
	v_pack_b32_f16 v2, v2, v12
	s_waitcnt vmcnt(10)
	v_mul_f16_sdwa v3, v18, v13 dst_sel:DWORD dst_unused:UNUSED_PAD src0_sel:WORD_1 src1_sel:DWORD
	ds_write2_b32 v1, v0, v2 offset0:36 offset1:196
	v_mul_f16_sdwa v0, v18, v17 dst_sel:DWORD dst_unused:UNUSED_PAD src0_sel:WORD_1 src1_sel:DWORD
	v_fma_f16 v3, v18, v17, v3
	v_fma_f16 v0, v18, v13, -v0
	s_waitcnt vmcnt(9)
	v_lshrrev_b32_e32 v1, 16, v19
	v_pack_b32_f16 v0, v3, v0
	s_waitcnt vmcnt(8)
	v_mul_f16_sdwa v2, v20, v1 dst_sel:DWORD dst_unused:UNUSED_PAD src0_sel:WORD_1 src1_sel:DWORD
	v_mul_f16_sdwa v3, v20, v19 dst_sel:DWORD dst_unused:UNUSED_PAD src0_sel:WORD_1 src1_sel:DWORD
	v_fma_f16 v2, v20, v19, v2
	v_fma_f16 v1, v20, v1, -v3
	v_pack_b32_f16 v1, v2, v1
	v_add_u32_e32 v2, 0xb00, v54
	ds_write2_b32 v2, v0, v1 offset0:36 offset1:196
	s_waitcnt vmcnt(7)
	v_lshrrev_b32_e32 v0, 16, v21
	s_waitcnt vmcnt(6)
	v_mul_f16_sdwa v1, v22, v0 dst_sel:DWORD dst_unused:UNUSED_PAD src0_sel:WORD_1 src1_sel:DWORD
	v_mul_f16_sdwa v2, v22, v21 dst_sel:DWORD dst_unused:UNUSED_PAD src0_sel:WORD_1 src1_sel:DWORD
	v_fma_f16 v1, v22, v21, v1
	v_fma_f16 v0, v22, v0, -v2
	v_pack_b32_f16 v0, v1, v0
	s_waitcnt vmcnt(5)
	v_lshrrev_b32_e32 v1, 16, v23
	s_waitcnt vmcnt(4)
	v_mul_f16_sdwa v2, v24, v1 dst_sel:DWORD dst_unused:UNUSED_PAD src0_sel:WORD_1 src1_sel:DWORD
	v_mul_f16_sdwa v3, v24, v23 dst_sel:DWORD dst_unused:UNUSED_PAD src0_sel:WORD_1 src1_sel:DWORD
	v_fma_f16 v2, v24, v23, v2
	v_fma_f16 v1, v24, v1, -v3
	v_pack_b32_f16 v1, v2, v1
	v_add_u32_e32 v2, 0x1000, v54
	ds_write2_b32 v2, v0, v1 offset0:36 offset1:196
	s_waitcnt vmcnt(3)
	v_lshrrev_b32_e32 v0, 16, v25
	s_waitcnt vmcnt(2)
	v_mul_f16_sdwa v1, v26, v0 dst_sel:DWORD dst_unused:UNUSED_PAD src0_sel:WORD_1 src1_sel:DWORD
	v_mul_f16_sdwa v2, v26, v25 dst_sel:DWORD dst_unused:UNUSED_PAD src0_sel:WORD_1 src1_sel:DWORD
	v_fma_f16 v1, v26, v25, v1
	v_fma_f16 v0, v26, v0, -v2
	v_pack_b32_f16 v0, v1, v0
	s_waitcnt vmcnt(1)
	v_lshrrev_b32_e32 v1, 16, v10
	s_waitcnt vmcnt(0)
	v_mul_f16_sdwa v2, v27, v1 dst_sel:DWORD dst_unused:UNUSED_PAD src0_sel:WORD_1 src1_sel:DWORD
	v_mul_f16_sdwa v3, v27, v10 dst_sel:DWORD dst_unused:UNUSED_PAD src0_sel:WORD_1 src1_sel:DWORD
	v_fma_f16 v2, v27, v10, v2
	v_fma_f16 v1, v27, v1, -v3
	v_pack_b32_f16 v1, v2, v1
	v_add_u32_e32 v2, 0x1500, v54
	ds_write2_b32 v2, v0, v1 offset0:36 offset1:196
.LBB0_3:
	s_or_b64 exec, exec, s[2:3]
	s_waitcnt lgkmcnt(0)
	s_barrier
	ds_read2_b32 v[18:19], v54 offset1:160
	ds_read2_b32 v[16:17], v4 offset0:64 offset1:224
	ds_read2_b32 v[14:15], v5 offset1:160
	ds_read2_b32 v[10:11], v6 offset0:64 offset1:224
	ds_read2_b32 v[12:13], v7 offset1:160
	s_load_dwordx2 s[2:3], s[4:5], 0x8
                                        ; implicit-def: $vgpr5
                                        ; implicit-def: $vgpr3
                                        ; implicit-def: $vgpr1
                                        ; implicit-def: $vgpr9
                                        ; implicit-def: $vgpr7
	s_and_saveexec_b64 s[4:5], s[0:1]
	s_cbranch_execz .LBB0_5
; %bb.4:
	v_add_u32_e32 v0, 0x100, v54
	ds_read2_b32 v[6:7], v0 offset0:36 offset1:196
	v_add_u32_e32 v0, 0x600, v54
	ds_read2_b32 v[8:9], v0 offset0:36 offset1:196
	v_add_u32_e32 v0, 0xb00, v54
	v_add_u32_e32 v2, 0x1000, v54
	;; [unrolled: 1-line block ×3, first 2 shown]
	ds_read2_b32 v[0:1], v0 offset0:36 offset1:196
	ds_read2_b32 v[2:3], v2 offset0:36 offset1:196
	;; [unrolled: 1-line block ×3, first 2 shown]
.LBB0_5:
	s_or_b64 exec, exec, s[4:5]
	s_waitcnt lgkmcnt(0)
	v_add_f16_e32 v20, v14, v10
	v_fma_f16 v20, v20, -0.5, v18
	v_sub_f16_sdwa v21, v16, v12 dst_sel:DWORD dst_unused:UNUSED_PAD src0_sel:WORD_1 src1_sel:WORD_1
	s_movk_i32 s4, 0x3b9c
	s_mov_b32 s13, 0xbb9c
	v_fma_f16 v22, v21, s4, v20
	v_sub_f16_sdwa v23, v14, v10 dst_sel:DWORD dst_unused:UNUSED_PAD src0_sel:WORD_1 src1_sel:WORD_1
	s_movk_i32 s5, 0x38b4
	v_sub_f16_e32 v24, v12, v10
	v_sub_f16_e32 v25, v16, v14
	v_fma_f16 v20, v21, s13, v20
	s_mov_b32 s16, 0xb8b4
	v_fma_f16 v22, v23, s5, v22
	v_add_f16_e32 v24, v25, v24
	s_movk_i32 s12, 0x34f2
	v_fma_f16 v20, v23, s16, v20
	v_fma_f16 v22, v24, s12, v22
	v_fma_f16 v20, v24, s12, v20
	v_add_f16_e32 v24, v16, v12
	v_fma_f16 v24, v24, -0.5, v18
	v_fma_f16 v25, v23, s13, v24
	v_fma_f16 v23, v23, s4, v24
	v_pk_add_f16 v39, v18, v16
	v_fma_f16 v25, v21, s5, v25
	v_sub_f16_e32 v26, v10, v12
	v_sub_f16_e32 v27, v14, v16
	v_fma_f16 v21, v21, s16, v23
	v_add_f16_sdwa v23, v14, v10 dst_sel:DWORD dst_unused:UNUSED_PAD src0_sel:WORD_1 src1_sel:WORD_1
	v_lshrrev_b32_e32 v18, 16, v18
	v_add_f16_e32 v26, v27, v26
	v_fma_f16 v23, v23, -0.5, v18
	v_sub_f16_e32 v24, v16, v12
	v_fma_f16 v25, v26, s12, v25
	v_fma_f16 v21, v26, s12, v21
	;; [unrolled: 1-line block ×3, first 2 shown]
	v_sub_f16_e32 v27, v14, v10
	v_sub_f16_sdwa v28, v16, v14 dst_sel:DWORD dst_unused:UNUSED_PAD src0_sel:WORD_1 src1_sel:WORD_1
	v_sub_f16_sdwa v29, v12, v10 dst_sel:DWORD dst_unused:UNUSED_PAD src0_sel:WORD_1 src1_sel:WORD_1
	v_fma_f16 v23, v24, s4, v23
	v_fma_f16 v26, v27, s16, v26
	v_add_f16_e32 v28, v28, v29
	v_fma_f16 v23, v27, s5, v23
	v_fma_f16 v26, v28, s12, v26
	;; [unrolled: 1-line block ×3, first 2 shown]
	v_add_f16_sdwa v28, v16, v12 dst_sel:DWORD dst_unused:UNUSED_PAD src0_sel:WORD_1 src1_sel:WORD_1
	v_fma_f16 v18, v28, -0.5, v18
	v_fma_f16 v28, v27, s4, v18
	v_sub_f16_sdwa v16, v14, v16 dst_sel:DWORD dst_unused:UNUSED_PAD src0_sel:WORD_1 src1_sel:WORD_1
	v_sub_f16_sdwa v29, v10, v12 dst_sel:DWORD dst_unused:UNUSED_PAD src0_sel:WORD_1 src1_sel:WORD_1
	v_fma_f16 v18, v27, s13, v18
	v_fma_f16 v28, v24, s16, v28
	v_add_f16_e32 v16, v16, v29
	v_fma_f16 v18, v24, s5, v18
	v_fma_f16 v28, v16, s12, v28
	v_fma_f16 v16, v16, s12, v18
	v_add_f16_e32 v18, v15, v11
	v_fma_f16 v18, v18, -0.5, v19
	v_sub_f16_sdwa v24, v17, v13 dst_sel:DWORD dst_unused:UNUSED_PAD src0_sel:WORD_1 src1_sel:WORD_1
	v_fma_f16 v27, v24, s4, v18
	v_sub_f16_sdwa v29, v15, v11 dst_sel:DWORD dst_unused:UNUSED_PAD src0_sel:WORD_1 src1_sel:WORD_1
	v_sub_f16_e32 v30, v13, v11
	v_sub_f16_e32 v34, v17, v15
	v_fma_f16 v18, v24, s13, v18
	v_fma_f16 v27, v29, s5, v27
	v_add_f16_e32 v30, v34, v30
	v_fma_f16 v18, v29, s16, v18
	v_fma_f16 v27, v30, s12, v27
	;; [unrolled: 1-line block ×3, first 2 shown]
	v_add_f16_e32 v30, v17, v13
	v_fma_f16 v30, v30, -0.5, v19
	v_fma_f16 v34, v29, s13, v30
	v_fma_f16 v29, v29, s4, v30
	v_pk_add_f16 v40, v19, v17
	v_fma_f16 v34, v24, s5, v34
	v_sub_f16_e32 v35, v11, v13
	v_sub_f16_e32 v36, v15, v17
	v_fma_f16 v24, v24, s16, v29
	v_add_f16_sdwa v29, v15, v11 dst_sel:DWORD dst_unused:UNUSED_PAD src0_sel:WORD_1 src1_sel:WORD_1
	v_lshrrev_b32_e32 v19, 16, v19
	v_add_f16_e32 v35, v36, v35
	v_fma_f16 v29, v29, -0.5, v19
	v_sub_f16_e32 v30, v17, v13
	v_fma_f16 v34, v35, s12, v34
	v_fma_f16 v24, v35, s12, v24
	;; [unrolled: 1-line block ×3, first 2 shown]
	v_sub_f16_e32 v36, v15, v11
	v_sub_f16_sdwa v37, v17, v15 dst_sel:DWORD dst_unused:UNUSED_PAD src0_sel:WORD_1 src1_sel:WORD_1
	v_sub_f16_sdwa v38, v13, v11 dst_sel:DWORD dst_unused:UNUSED_PAD src0_sel:WORD_1 src1_sel:WORD_1
	v_fma_f16 v29, v30, s4, v29
	v_fma_f16 v35, v36, s16, v35
	v_add_f16_e32 v37, v37, v38
	v_fma_f16 v29, v36, s5, v29
	v_fma_f16 v35, v37, s12, v35
	;; [unrolled: 1-line block ×3, first 2 shown]
	v_add_f16_sdwa v37, v17, v13 dst_sel:DWORD dst_unused:UNUSED_PAD src0_sel:WORD_1 src1_sel:WORD_1
	v_fma_f16 v19, v37, -0.5, v19
	v_fma_f16 v37, v36, s4, v19
	v_sub_f16_sdwa v17, v15, v17 dst_sel:DWORD dst_unused:UNUSED_PAD src0_sel:WORD_1 src1_sel:WORD_1
	v_sub_f16_sdwa v38, v11, v13 dst_sel:DWORD dst_unused:UNUSED_PAD src0_sel:WORD_1 src1_sel:WORD_1
	v_fma_f16 v19, v36, s13, v19
	v_fma_f16 v37, v30, s16, v37
	v_add_f16_e32 v17, v17, v38
	v_fma_f16 v19, v30, s5, v19
	v_fma_f16 v37, v17, s12, v37
	;; [unrolled: 1-line block ×3, first 2 shown]
	v_mul_f16_e32 v36, 0x34f2, v24
	v_fma_f16 v36, v17, s4, -v36
	v_mul_f16_e32 v17, 0x34f2, v17
	v_mul_f16_e32 v19, 0x3a79, v27
	v_fma_f16 v17, v24, s13, -v17
	v_fma_f16 v19, v35, s5, v19
	v_mul_f16_e32 v38, 0x3a79, v18
	v_add_f16_e32 v53, v16, v17
	v_mul_f16_e32 v24, 0x3a79, v29
	v_sub_f16_e32 v77, v16, v17
	v_add_f16_e32 v16, v2, v0
	v_add_f16_e32 v41, v22, v19
	v_fma_f16 v38, v29, s5, -v38
	v_fma_f16 v18, v18, s16, -v24
	v_sub_f16_e32 v71, v22, v19
	v_fma_f16 v17, v16, -0.5, v6
	v_sub_f16_sdwa v19, v8, v4 dst_sel:DWORD dst_unused:UNUSED_PAD src0_sel:WORD_1 src1_sel:WORD_1
	v_add_f16_e32 v43, v21, v36
	v_add_f16_e32 v45, v20, v38
	;; [unrolled: 1-line block ×3, first 2 shown]
	v_sub_f16_e32 v73, v21, v36
	v_sub_f16_e32 v74, v20, v38
	;; [unrolled: 1-line block ×3, first 2 shown]
	v_fma_f16 v16, v19, s4, v17
	v_sub_f16_sdwa v20, v0, v2 dst_sel:DWORD dst_unused:UNUSED_PAD src0_sel:WORD_1 src1_sel:WORD_1
	v_sub_f16_e32 v18, v8, v0
	v_sub_f16_e32 v21, v4, v2
	v_fma_f16 v17, v19, s13, v17
	v_fma_f16 v16, v20, s5, v16
	v_add_f16_e32 v18, v21, v18
	v_fma_f16 v17, v20, s16, v17
	v_fma_f16 v16, v18, s12, v16
	;; [unrolled: 1-line block ×3, first 2 shown]
	v_add_f16_e32 v18, v4, v8
	v_fma_f16 v21, v18, -0.5, v6
	v_fma_f16 v18, v20, s13, v21
	v_sub_f16_e32 v22, v0, v8
	v_sub_f16_e32 v23, v2, v4
	v_fma_f16 v20, v20, s4, v21
	v_fma_f16 v18, v19, s5, v18
	v_add_f16_e32 v22, v23, v22
	v_fma_f16 v19, v19, s16, v20
	s_movk_i32 s17, 0x3a79
	v_mul_f16_e32 v30, 0x3b9c, v37
	v_mul_f16_e32 v27, 0xb8b4, v27
	v_fma_f16 v18, v22, s12, v18
	v_fma_f16 v19, v22, s12, v19
	v_add_f16_sdwa v20, v2, v0 dst_sel:DWORD dst_unused:UNUSED_PAD src0_sel:WORD_1 src1_sel:WORD_1
	v_lshrrev_b32_e32 v22, 16, v6
	v_fma_f16 v30, v34, s12, v30
	v_fma_f16 v27, v35, s17, v27
	v_fma_f16 v21, v20, -0.5, v22
	v_sub_f16_e32 v23, v8, v4
	v_add_f16_e32 v42, v25, v30
	v_add_f16_e32 v46, v26, v27
	v_sub_f16_e32 v72, v25, v30
	v_sub_f16_e32 v75, v26, v27
	v_fma_f16 v20, v23, s13, v21
	v_sub_f16_e32 v24, v0, v2
	v_sub_f16_sdwa v25, v8, v0 dst_sel:DWORD dst_unused:UNUSED_PAD src0_sel:WORD_1 src1_sel:WORD_1
	v_sub_f16_sdwa v26, v4, v2 dst_sel:DWORD dst_unused:UNUSED_PAD src0_sel:WORD_1 src1_sel:WORD_1
	v_fma_f16 v21, v23, s4, v21
	v_fma_f16 v20, v24, s16, v20
	v_add_f16_e32 v25, v26, v25
	v_fma_f16 v21, v24, s5, v21
	v_fma_f16 v20, v25, s12, v20
	;; [unrolled: 1-line block ×3, first 2 shown]
	v_add_f16_sdwa v25, v4, v8 dst_sel:DWORD dst_unused:UNUSED_PAD src0_sel:WORD_1 src1_sel:WORD_1
	v_fma_f16 v25, v25, -0.5, v22
	v_fma_f16 v22, v24, s4, v25
	v_fma_f16 v24, v24, s13, v25
	v_mul_f16_e32 v34, 0xbb9c, v34
	v_fma_f16 v22, v23, s16, v22
	v_sub_f16_sdwa v26, v0, v8 dst_sel:DWORD dst_unused:UNUSED_PAD src0_sel:WORD_1 src1_sel:WORD_1
	v_sub_f16_sdwa v27, v2, v4 dst_sel:DWORD dst_unused:UNUSED_PAD src0_sel:WORD_1 src1_sel:WORD_1
	v_fma_f16 v23, v23, s5, v24
	v_add_f16_e32 v24, v3, v1
	v_fma_f16 v34, v37, s12, v34
	v_add_f16_e32 v26, v27, v26
	v_fma_f16 v24, v24, -0.5, v7
	v_sub_f16_sdwa v25, v9, v5 dst_sel:DWORD dst_unused:UNUSED_PAD src0_sel:WORD_1 src1_sel:WORD_1
	v_add_f16_e32 v47, v28, v34
	v_sub_f16_e32 v76, v28, v34
	v_fma_f16 v22, v26, s12, v22
	v_fma_f16 v23, v26, s12, v23
	;; [unrolled: 1-line block ×3, first 2 shown]
	v_sub_f16_sdwa v27, v1, v3 dst_sel:DWORD dst_unused:UNUSED_PAD src0_sel:WORD_1 src1_sel:WORD_1
	v_sub_f16_e32 v28, v9, v1
	v_sub_f16_e32 v29, v5, v3
	v_fma_f16 v24, v25, s13, v24
	v_add_f16_e32 v28, v29, v28
	v_fma_f16 v24, v27, s16, v24
	v_fma_f16 v34, v28, s12, v24
	v_add_f16_e32 v24, v5, v9
	v_fma_f16 v26, v27, s5, v26
	v_fma_f16 v24, v24, -0.5, v7
	v_fma_f16 v29, v28, s12, v26
	v_fma_f16 v26, v27, s13, v24
	v_sub_f16_e32 v28, v1, v9
	v_sub_f16_e32 v30, v3, v5
	v_fma_f16 v24, v27, s4, v24
	v_add_f16_e32 v28, v30, v28
	v_fma_f16 v24, v25, s16, v24
	v_fma_f16 v26, v25, s5, v26
	;; [unrolled: 1-line block ×3, first 2 shown]
	v_add_f16_sdwa v24, v3, v1 dst_sel:DWORD dst_unused:UNUSED_PAD src0_sel:WORD_1 src1_sel:WORD_1
	v_lshrrev_b32_e32 v25, 16, v7
	v_fma_f16 v30, v28, s12, v26
	v_fma_f16 v24, v24, -0.5, v25
	v_sub_f16_e32 v26, v9, v5
	v_fma_f16 v27, v26, s13, v24
	v_sub_f16_e32 v28, v1, v3
	v_sub_f16_sdwa v36, v9, v1 dst_sel:DWORD dst_unused:UNUSED_PAD src0_sel:WORD_1 src1_sel:WORD_1
	v_sub_f16_sdwa v37, v5, v3 dst_sel:DWORD dst_unused:UNUSED_PAD src0_sel:WORD_1 src1_sel:WORD_1
	v_fma_f16 v24, v26, s4, v24
	v_fma_f16 v27, v28, s16, v27
	v_add_f16_e32 v36, v37, v36
	v_fma_f16 v24, v28, s5, v24
	v_fma_f16 v37, v36, s12, v27
	;; [unrolled: 1-line block ×3, first 2 shown]
	v_add_f16_sdwa v24, v5, v9 dst_sel:DWORD dst_unused:UNUSED_PAD src0_sel:WORD_1 src1_sel:WORD_1
	v_fma_f16 v24, v24, -0.5, v25
	v_fma_f16 v25, v28, s4, v24
	v_sub_f16_sdwa v27, v1, v9 dst_sel:DWORD dst_unused:UNUSED_PAD src0_sel:WORD_1 src1_sel:WORD_1
	v_sub_f16_sdwa v38, v3, v5 dst_sel:DWORD dst_unused:UNUSED_PAD src0_sel:WORD_1 src1_sel:WORD_1
	v_fma_f16 v25, v26, s16, v25
	v_add_f16_e32 v27, v38, v27
	v_fma_f16 v24, v28, s13, v24
	v_pk_add_f16 v14, v39, v14
	v_fma_f16 v38, v27, s12, v25
	v_fma_f16 v24, v26, s5, v24
	v_pk_add_f16 v15, v40, v15
	v_pk_add_f16 v10, v14, v10
	v_fma_f16 v49, v27, s12, v24
	v_mul_f16_e32 v24, 0x38b4, v37
	v_mul_f16_e32 v25, 0x3b9c, v38
	v_pk_add_f16 v14, v10, v12
	v_pk_add_f16 v10, v15, v11
	v_fma_f16 v24, v29, s17, v24
	v_fma_f16 v25, v30, s12, v25
	v_mul_f16_e32 v28, 0xb8b4, v29
	v_mul_f16_e32 v29, 0xbb9c, v30
	;; [unrolled: 1-line block ×3, first 2 shown]
	v_mul_lo_u16_e32 v39, 10, v65
	v_pk_add_f16 v15, v10, v13
	v_mul_f16_e32 v26, 0x34f2, v35
	v_mul_f16_e32 v27, 0x3a79, v34
	v_fma_f16 v30, v35, s13, -v30
	v_mul_f16_e32 v35, 0x3a79, v36
	v_lshl_add_u32 v70, v39, 2, v68
	v_pk_add_f16 v10, v14, v15
	v_pack_b32_f16 v11, v41, v46
	v_pack_b32_f16 v13, v43, v53
	;; [unrolled: 1-line block ×3, first 2 shown]
	v_add_co_u32_e32 v48, vcc, 0x64, v65
	v_fma_f16 v26, v49, s4, -v26
	v_fma_f16 v27, v36, s5, -v27
	v_fma_f16 v28, v37, s17, v28
	v_fma_f16 v29, v38, s12, v29
	v_fma_f16 v38, v34, s16, -v35
	s_barrier
	ds_write2_b64 v70, v[10:11], v[12:13] offset1:1
	v_pk_add_f16 v11, v14, v15 neg_lo:[0,1] neg_hi:[0,1]
	v_pack_b32_f16 v12, v71, v75
	v_pack_b32_f16 v13, v72, v76
	;; [unrolled: 1-line block ×3, first 2 shown]
	v_sub_f16_e32 v36, v16, v24
	v_sub_f16_e32 v37, v18, v25
	v_sub_f16_e32 v34, v19, v26
	v_sub_f16_e32 v35, v17, v27
	v_sub_f16_e32 v52, v20, v28
	v_sub_f16_e32 v51, v22, v29
	v_sub_f16_e32 v50, v23, v30
	v_sub_f16_e32 v49, v21, v38
	ds_write2_b64 v70, v[10:11], v[12:13] offset0:2 offset1:3
	v_pack_b32_f16 v11, v74, v78
	v_pack_b32_f16 v10, v73, v77
	v_mul_u32_u24_e32 v69, 10, v48
	ds_write_b64 v70, v[10:11] offset:32
	s_and_saveexec_b64 s[4:5], s[0:1]
	s_cbranch_execz .LBB0_7
; %bb.6:
	v_pk_add_f16 v6, v8, v6
	v_pk_add_f16 v0, v0, v6
	;; [unrolled: 1-line block ×7, first 2 shown]
	v_add_f16_e32 v9, v23, v30
	v_add_f16_e32 v10, v22, v29
	;; [unrolled: 1-line block ×6, first 2 shown]
	v_pk_add_f16 v5, v5, v0
	v_add_f16_e32 v8, v21, v38
	v_add_f16_e32 v12, v17, v27
	v_lshl_add_u32 v16, v69, 2, v68
	v_pk_add_f16 v0, v5, v4
	v_pack_b32_f16 v3, v13, v9
	v_pack_b32_f16 v2, v14, v10
	;; [unrolled: 1-line block ×3, first 2 shown]
	s_mov_b32 s12, 0x5040100
	ds_write2_b64 v16, v[0:1], v[2:3] offset1:1
	v_pk_add_f16 v1, v4, v5 neg_lo:[0,1] neg_hi:[0,1]
	v_perm_b32 v3, v51, v37, s12
	v_perm_b32 v2, v52, v36, s12
	v_pack_b32_f16 v0, v12, v8
	ds_write2_b64 v16, v[0:1], v[2:3] offset0:2 offset1:3
	v_perm_b32 v1, v49, v35, s12
	v_perm_b32 v0, v50, v34, s12
	ds_write_b64 v16, v[0:1] offset:32
.LBB0_7:
	s_or_b64 exec, exec, s[4:5]
	s_movk_i32 s4, 0xcd
	v_mul_lo_u16_sdwa v0, v65, s4 dst_sel:DWORD dst_unused:UNUSED_PAD src0_sel:BYTE_0 src1_sel:DWORD
	v_lshrrev_b16_e32 v40, 11, v0
	v_mul_lo_u16_e32 v0, 10, v40
	v_sub_u16_e32 v0, v65, v0
	v_and_b32_e32 v41, 0xff, v0
	v_mad_u64_u32 v[0:1], s[4:5], v41, 60, s[2:3]
	s_waitcnt lgkmcnt(0)
	s_barrier
	global_load_dwordx4 v[8:11], v[0:1], off
	global_load_dwordx4 v[12:15], v[0:1], off offset:16
	global_load_dwordx4 v[16:19], v[0:1], off offset:32
	global_load_dwordx3 v[28:30], v[0:1], off offset:48
	ds_read2_b32 v[0:1], v54 offset1:100
	v_add_u32_e32 v2, 0x200, v54
	v_add_u32_e32 v6, 0x800, v54
	;; [unrolled: 1-line block ×7, first 2 shown]
	ds_read2_b32 v[2:3], v2 offset0:72 offset1:172
	ds_read2_b32 v[4:5], v47 offset0:144 offset1:244
	ds_read2_b32 v[6:7], v6 offset0:88 offset1:188
	ds_read2_b32 v[20:21], v20 offset0:32 offset1:132
	ds_read2_b32 v[22:23], v46 offset0:104 offset1:204
	ds_read2_b32 v[24:25], v24 offset0:48 offset1:148
	ds_read2_b32 v[26:27], v45 offset0:120 offset1:220
	s_waitcnt lgkmcnt(7)
	v_lshrrev_b32_e32 v39, 16, v1
	s_waitcnt lgkmcnt(5)
	v_lshrrev_b32_e32 v53, 16, v4
	;; [unrolled: 2-line block ×4, first 2 shown]
	v_lshrrev_b32_e32 v79, 16, v25
	s_waitcnt lgkmcnt(0)
	v_lshrrev_b32_e32 v80, 16, v26
	v_lshrrev_b32_e32 v81, 16, v27
	v_lshrrev_b32_e32 v42, 16, v2
	v_lshrrev_b32_e32 v74, 16, v20
	v_lshrrev_b32_e32 v76, 16, v22
	v_lshrrev_b32_e32 v38, 16, v0
	v_lshrrev_b32_e32 v71, 16, v5
	v_lshrrev_b32_e32 v73, 16, v7
	v_lshrrev_b32_e32 v43, 16, v3
	v_lshrrev_b32_e32 v75, 16, v21
	v_lshrrev_b32_e32 v77, 16, v23
	s_mov_b32 s4, 0xb9a8
	s_movk_i32 s5, 0x39a8
	s_mov_b32 s12, 0xbb64
	s_movk_i32 s16, 0x361f
	;; [unrolled: 2-line block ×3, first 2 shown]
	v_mul_u32_u24_e32 v40, 0xa0, v40
	v_or_b32_e32 v40, v40, v41
	s_waitcnt vmcnt(0)
	s_barrier
	v_mul_f16_sdwa v82, v39, v8 dst_sel:DWORD dst_unused:UNUSED_PAD src0_sel:DWORD src1_sel:WORD_1
	v_mul_f16_sdwa v83, v1, v8 dst_sel:DWORD dst_unused:UNUSED_PAD src0_sel:DWORD src1_sel:WORD_1
	v_mul_f16_sdwa v104, v78, v19 dst_sel:DWORD dst_unused:UNUSED_PAD src0_sel:DWORD src1_sel:WORD_1
	v_fma_f16 v1, v1, v8, -v82
	v_fma_f16 v82, v24, v19, -v104
	v_mul_f16_sdwa v24, v24, v19 dst_sel:DWORD dst_unused:UNUSED_PAD src0_sel:DWORD src1_sel:WORD_1
	v_fma_f16 v24, v78, v19, v24
	v_mul_f16_sdwa v78, v79, v28 dst_sel:DWORD dst_unused:UNUSED_PAD src0_sel:DWORD src1_sel:WORD_1
	v_fma_f16 v78, v25, v28, -v78
	v_mul_f16_sdwa v25, v25, v28 dst_sel:DWORD dst_unused:UNUSED_PAD src0_sel:DWORD src1_sel:WORD_1
	v_fma_f16 v25, v79, v28, v25
	v_mul_f16_sdwa v79, v80, v29 dst_sel:DWORD dst_unused:UNUSED_PAD src0_sel:DWORD src1_sel:WORD_1
	v_fma_f16 v79, v26, v29, -v79
	v_mul_f16_sdwa v26, v26, v29 dst_sel:DWORD dst_unused:UNUSED_PAD src0_sel:DWORD src1_sel:WORD_1
	v_mul_f16_sdwa v85, v2, v9 dst_sel:DWORD dst_unused:UNUSED_PAD src0_sel:DWORD src1_sel:WORD_1
	;; [unrolled: 1-line block ×6, first 2 shown]
	v_fma_f16 v26, v80, v29, v26
	v_mul_f16_sdwa v80, v81, v30 dst_sel:DWORD dst_unused:UNUSED_PAD src0_sel:DWORD src1_sel:WORD_1
	v_mul_f16_sdwa v84, v42, v9 dst_sel:DWORD dst_unused:UNUSED_PAD src0_sel:DWORD src1_sel:WORD_1
	;; [unrolled: 1-line block ×6, first 2 shown]
	v_fma_f16 v42, v42, v9, v85
	v_fma_f16 v4, v4, v11, -v88
	v_fma_f16 v6, v6, v13, -v92
	v_fma_f16 v74, v74, v15, v97
	v_fma_f16 v76, v76, v17, v101
	v_fma_f16 v80, v27, v30, -v80
	v_mul_f16_sdwa v27, v27, v30 dst_sel:DWORD dst_unused:UNUSED_PAD src0_sel:DWORD src1_sel:WORD_1
	v_mul_f16_sdwa v87, v3, v10 dst_sel:DWORD dst_unused:UNUSED_PAD src0_sel:DWORD src1_sel:WORD_1
	;; [unrolled: 1-line block ×8, first 2 shown]
	v_fma_f16 v2, v2, v9, -v84
	v_fma_f16 v53, v53, v11, v89
	v_fma_f16 v72, v72, v13, v93
	v_fma_f16 v20, v20, v15, -v96
	v_fma_f16 v22, v22, v17, -v100
	v_fma_f16 v27, v81, v30, v27
	v_sub_f16_e32 v74, v38, v74
	v_sub_f16_e32 v81, v4, v82
	;; [unrolled: 1-line block ×4, first 2 shown]
	v_mul_f16_sdwa v86, v43, v10 dst_sel:DWORD dst_unused:UNUSED_PAD src0_sel:DWORD src1_sel:WORD_1
	v_mul_f16_sdwa v98, v75, v16 dst_sel:DWORD dst_unused:UNUSED_PAD src0_sel:DWORD src1_sel:WORD_1
	;; [unrolled: 1-line block ×3, first 2 shown]
	v_fma_f16 v39, v39, v8, v83
	v_fma_f16 v43, v43, v10, v87
	v_fma_f16 v5, v5, v12, -v90
	v_fma_f16 v71, v71, v12, v91
	v_fma_f16 v7, v7, v14, -v94
	v_fma_f16 v73, v73, v14, v95
	v_fma_f16 v75, v75, v16, v99
	;; [unrolled: 1-line block ×3, first 2 shown]
	v_sub_f16_e32 v20, v0, v20
	v_sub_f16_e32 v24, v53, v24
	v_fma_f16 v4, v4, 2.0, -v81
	v_sub_f16_e32 v22, v2, v22
	v_sub_f16_e32 v26, v72, v26
	v_fma_f16 v6, v6, 2.0, -v79
	v_add_f16_e32 v81, v74, v81
	v_add_f16_e32 v79, v76, v79
	v_fma_f16 v3, v3, v10, -v86
	v_fma_f16 v21, v21, v16, -v98
	;; [unrolled: 1-line block ×3, first 2 shown]
	v_fma_f16 v38, v38, 2.0, -v74
	v_fma_f16 v53, v53, 2.0, -v24
	;; [unrolled: 1-line block ×4, first 2 shown]
	v_sub_f16_e32 v75, v39, v75
	v_sub_f16_e32 v78, v5, v78
	;; [unrolled: 1-line block ×7, first 2 shown]
	v_fma_f16 v74, v74, 2.0, -v81
	v_sub_f16_e32 v26, v22, v26
	v_fma_f16 v76, v76, 2.0, -v79
	v_fma_f16 v0, v0, 2.0, -v20
	v_fma_f16 v2, v2, 2.0, -v22
	v_sub_f16_e32 v21, v1, v21
	v_fma_f16 v39, v39, 2.0, -v75
	v_fma_f16 v5, v5, 2.0, -v78
	;; [unrolled: 4-line block ×3, first 2 shown]
	v_fma_f16 v73, v73, 2.0, -v27
	v_fma_f16 v20, v20, 2.0, -v24
	;; [unrolled: 1-line block ×3, first 2 shown]
	v_add_f16_e32 v78, v75, v78
	v_add_f16_e32 v80, v77, v80
	v_fma_f16 v83, v76, s4, v74
	v_sub_f16_e32 v53, v38, v53
	v_sub_f16_e32 v72, v42, v72
	;; [unrolled: 1-line block ×4, first 2 shown]
	v_fma_f16 v75, v75, 2.0, -v78
	v_sub_f16_e32 v73, v43, v73
	v_sub_f16_e32 v27, v23, v27
	v_fma_f16 v77, v77, 2.0, -v80
	v_fma_f16 v82, v22, s4, v20
	v_fma_f16 v22, v22, s5, v83
	;; [unrolled: 1-line block ×3, first 2 shown]
	v_fma_f16 v1, v1, 2.0, -v21
	v_fma_f16 v3, v3, 2.0, -v23
	;; [unrolled: 1-line block ×8, first 2 shown]
	v_fma_f16 v82, v76, s4, v82
	v_fma_f16 v76, v26, s5, v24
	;; [unrolled: 1-line block ×4, first 2 shown]
	v_sub_f16_e32 v6, v2, v6
	v_sub_f16_e32 v7, v3, v7
	;; [unrolled: 1-line block ×3, first 2 shown]
	v_fma_f16 v79, v79, s4, v76
	v_fma_f16 v76, v81, 2.0, -v26
	v_sub_f16_e32 v43, v39, v43
	v_fma_f16 v81, v23, s4, v21
	v_fma_f16 v23, v23, s5, v83
	v_sub_f16_e32 v4, v0, v4
	v_fma_f16 v2, v2, 2.0, -v6
	v_sub_f16_e32 v5, v1, v5
	v_fma_f16 v3, v3, 2.0, -v7
	v_fma_f16 v38, v38, 2.0, -v42
	;; [unrolled: 1-line block ×3, first 2 shown]
	v_add_f16_e32 v6, v53, v6
	v_fma_f16 v39, v39, 2.0, -v43
	v_fma_f16 v77, v77, s4, v81
	v_fma_f16 v75, v75, 2.0, -v23
	v_add_f16_e32 v7, v71, v7
	v_fma_f16 v81, v27, s5, v25
	v_fma_f16 v83, v80, s5, v78
	v_fma_f16 v1, v1, 2.0, -v5
	v_fma_f16 v20, v20, 2.0, -v82
	v_sub_f16_e32 v72, v4, v72
	v_fma_f16 v53, v53, 2.0, -v6
	v_fma_f16 v21, v21, 2.0, -v77
	v_sub_f16_e32 v73, v5, v73
	v_fma_f16 v71, v71, 2.0, -v7
	v_fma_f16 v80, v80, s4, v81
	v_fma_f16 v27, v27, s5, v83
	v_sub_f16_e32 v81, v38, v39
	v_fma_f16 v39, v75, s12, v74
	v_fma_f16 v0, v0, 2.0, -v4
	v_fma_f16 v4, v4, 2.0, -v72
	v_sub_f16_e32 v3, v1, v3
	v_fma_f16 v5, v5, 2.0, -v73
	v_fma_f16 v78, v78, 2.0, -v27
	;; [unrolled: 1-line block ×3, first 2 shown]
	v_fma_f16 v38, v21, s12, v20
	v_fma_f16 v21, v21, s16, v39
	;; [unrolled: 1-line block ×3, first 2 shown]
	v_fma_f16 v25, v25, 2.0, -v80
	v_fma_f16 v84, v75, s13, v38
	v_fma_f16 v85, v74, 2.0, -v21
	v_fma_f16 v38, v5, s4, v4
	v_fma_f16 v74, v5, s5, v39
	;; [unrolled: 1-line block ×3, first 2 shown]
	v_add_f16_e32 v75, v42, v3
	v_sub_f16_e32 v2, v0, v2
	v_fma_f16 v24, v24, 2.0, -v79
	v_fma_f16 v1, v1, 2.0, -v3
	v_fma_f16 v38, v71, s4, v38
	v_fma_f16 v71, v25, s17, v5
	v_fma_f16 v3, v42, 2.0, -v75
	v_fma_f16 v42, v23, s16, v22
	v_fma_f16 v0, v0, 2.0, -v2
	v_fma_f16 v86, v4, 2.0, -v38
	v_fma_f16 v4, v25, s13, v24
	v_fma_f16 v25, v76, 2.0, -v71
	v_fma_f16 v76, v77, s17, v42
	v_fma_f16 v42, v73, s5, v72
	v_sub_f16_e32 v1, v0, v1
	v_fma_f16 v42, v7, s4, v42
	v_fma_f16 v0, v0, 2.0, -v1
	v_fma_f16 v20, v20, 2.0, -v84
	v_fma_f16 v39, v78, s12, v4
	v_sub_f16_e32 v4, v2, v43
	v_fma_f16 v5, v77, s16, v82
	v_fma_f16 v43, v7, s5, v6
	v_fma_f16 v7, v72, 2.0, -v42
	v_fma_f16 v72, v27, s17, v26
	v_fma_f16 v53, v53, 2.0, -v74
	v_fma_f16 v24, v24, 2.0, -v39
	v_fma_f16 v5, v23, s12, v5
	v_fma_f16 v78, v73, s5, v43
	v_fma_f16 v43, v80, s17, v79
	v_fma_f16 v77, v80, s16, v72
	v_lshl_add_u32 v72, v40, 2, v68
	v_pack_b32_f16 v0, v0, v83
	v_pack_b32_f16 v20, v20, v85
	v_fma_f16 v2, v2, 2.0, -v4
	v_fma_f16 v23, v82, 2.0, -v5
	;; [unrolled: 1-line block ×3, first 2 shown]
	v_fma_f16 v43, v27, s13, v43
	ds_write2_b32 v72, v0, v20 offset1:10
	v_pack_b32_f16 v0, v86, v53
	v_pack_b32_f16 v20, v24, v25
	v_fma_f16 v6, v6, 2.0, -v78
	v_fma_f16 v27, v79, 2.0, -v43
	;; [unrolled: 1-line block ×3, first 2 shown]
	ds_write2_b32 v72, v0, v20 offset0:20 offset1:30
	v_pack_b32_f16 v0, v2, v3
	v_pack_b32_f16 v2, v23, v22
	ds_write2_b32 v72, v0, v2 offset0:40 offset1:50
	v_pack_b32_f16 v0, v7, v6
	v_pack_b32_f16 v2, v27, v26
	;; [unrolled: 3-line block ×6, first 2 shown]
	v_add_u32_e32 v53, 0xa00, v54
	ds_write2_b32 v72, v0, v1 offset0:140 offset1:150
	s_waitcnt lgkmcnt(0)
	s_barrier
	ds_read2_b32 v[40:41], v54 offset1:160
	ds_read2_b32 v[24:25], v47 offset0:64 offset1:224
	ds_read2_b32 v[6:7], v53 offset1:160
	ds_read2_b32 v[2:3], v46 offset0:64 offset1:224
	ds_read2_b32 v[0:1], v45 offset1:160
	s_and_saveexec_b64 s[4:5], s[0:1]
	s_cbranch_execz .LBB0_9
; %bb.8:
	v_add_u32_e32 v20, 0xb00, v54
	v_add_u32_e32 v4, 0x100, v54
	ds_read2_b32 v[42:43], v20 offset0:36 offset1:196
	v_add_u32_e32 v20, 0x1000, v54
	ds_read2_b32 v[38:39], v4 offset0:36 offset1:196
	v_add_u32_e32 v4, 0x600, v54
	ds_read2_b32 v[36:37], v20 offset0:36 offset1:196
	v_add_u32_e32 v20, 0x1500, v54
	ds_read2_b32 v[4:5], v4 offset0:36 offset1:196
	ds_read2_b32 v[34:35], v20 offset0:36 offset1:196
	s_waitcnt lgkmcnt(3)
	v_lshrrev_b32_e32 v74, 16, v38
	v_lshrrev_b32_e32 v71, 16, v39
	;; [unrolled: 1-line block ×3, first 2 shown]
	s_waitcnt lgkmcnt(1)
	v_lshrrev_b32_e32 v75, 16, v4
	v_lshrrev_b32_e32 v76, 16, v5
	;; [unrolled: 1-line block ×5, first 2 shown]
	s_waitcnt lgkmcnt(0)
	v_lshrrev_b32_e32 v50, 16, v34
	v_lshrrev_b32_e32 v49, 16, v35
.LBB0_9:
	s_or_b64 exec, exec, s[4:5]
	v_mad_u64_u32 v[79:80], s[4:5], v65, 36, s[2:3]
	s_waitcnt lgkmcnt(4)
	v_lshrrev_b32_e32 v26, 16, v41
	s_waitcnt lgkmcnt(3)
	v_lshrrev_b32_e32 v27, 16, v24
	global_load_dwordx4 v[20:23], v[79:80], off offset:600
	v_lshrrev_b32_e32 v73, 16, v25
	s_waitcnt lgkmcnt(2)
	v_lshrrev_b32_e32 v82, 16, v6
	v_lshrrev_b32_e32 v83, 16, v7
	s_waitcnt lgkmcnt(1)
	v_lshrrev_b32_e32 v84, 16, v2
	;; [unrolled: 3-line block ×3, first 2 shown]
	v_lshrrev_b32_e32 v87, 16, v1
	s_movk_i32 s5, 0x3b9c
	s_movk_i32 s12, 0x38b4
	s_movk_i32 s4, 0x34f2
	v_lshrrev_b32_e32 v81, 16, v40
	s_movk_i32 s13, 0x3a79
	s_waitcnt vmcnt(0)
	v_mul_f16_sdwa v88, v26, v20 dst_sel:DWORD dst_unused:UNUSED_PAD src0_sel:DWORD src1_sel:WORD_1
	v_fma_f16 v88, v41, v20, -v88
	v_mul_f16_sdwa v41, v41, v20 dst_sel:DWORD dst_unused:UNUSED_PAD src0_sel:DWORD src1_sel:WORD_1
	v_fma_f16 v41, v26, v20, v41
	v_mul_f16_sdwa v26, v27, v21 dst_sel:DWORD dst_unused:UNUSED_PAD src0_sel:DWORD src1_sel:WORD_1
	v_fma_f16 v89, v24, v21, -v26
	v_mul_f16_sdwa v24, v24, v21 dst_sel:DWORD dst_unused:UNUSED_PAD src0_sel:DWORD src1_sel:WORD_1
	v_fma_f16 v90, v27, v21, v24
	;; [unrolled: 4-line block ×3, first 2 shown]
	v_mul_f16_sdwa v24, v82, v23 dst_sel:DWORD dst_unused:UNUSED_PAD src0_sel:DWORD src1_sel:WORD_1
	v_fma_f16 v93, v6, v23, -v24
	global_load_dwordx4 v[24:27], v[79:80], off offset:616
	global_load_dword v73, v[79:80], off offset:632
	v_mul_f16_sdwa v6, v6, v23 dst_sel:DWORD dst_unused:UNUSED_PAD src0_sel:DWORD src1_sel:WORD_1
	v_fma_f16 v82, v82, v23, v6
	v_sub_f16_e32 v104, v89, v93
	s_waitcnt vmcnt(1)
	v_mul_f16_sdwa v6, v83, v24 dst_sel:DWORD dst_unused:UNUSED_PAD src0_sel:DWORD src1_sel:WORD_1
	v_fma_f16 v94, v7, v24, -v6
	v_mul_f16_sdwa v6, v7, v24 dst_sel:DWORD dst_unused:UNUSED_PAD src0_sel:DWORD src1_sel:WORD_1
	v_fma_f16 v83, v83, v24, v6
	v_mul_f16_sdwa v6, v84, v25 dst_sel:DWORD dst_unused:UNUSED_PAD src0_sel:DWORD src1_sel:WORD_1
	v_fma_f16 v95, v2, v25, -v6
	v_mul_f16_sdwa v2, v2, v25 dst_sel:DWORD dst_unused:UNUSED_PAD src0_sel:DWORD src1_sel:WORD_1
	v_fma_f16 v84, v84, v25, v2
	;; [unrolled: 4-line block ×4, first 2 shown]
	s_waitcnt vmcnt(0)
	v_mul_f16_sdwa v0, v87, v73 dst_sel:DWORD dst_unused:UNUSED_PAD src0_sel:DWORD src1_sel:WORD_1
	v_fma_f16 v98, v1, v73, -v0
	v_mul_f16_sdwa v0, v1, v73 dst_sel:DWORD dst_unused:UNUSED_PAD src0_sel:DWORD src1_sel:WORD_1
	v_fma_f16 v87, v87, v73, v0
	v_subrev_u32_e32 v0, 60, v65
	v_cndmask_b32_e64 v0, v0, v48, s[0:1]
	v_mul_hi_i32_i24_e32 v1, 36, v0
	v_mul_i32_i24_e32 v0, 36, v0
	v_add_co_u32_e32 v79, vcc, s2, v0
	v_mov_b32_e32 v0, s3
	v_addc_co_u32_e32 v80, vcc, v0, v1, vcc
	global_load_dwordx4 v[0:3], v[79:80], off offset:600
	s_mov_b32 s3, 0xbb9c
	v_sub_f16_e32 v103, v82, v84
	v_sub_f16_e32 v105, v97, v95
	s_mov_b32 s2, 0xb8b4
	v_add_f16_e32 v104, v104, v105
	v_sub_f16_e32 v105, v93, v89
	v_sub_f16_e32 v106, v95, v97
	v_add_f16_e32 v105, v105, v106
	v_sub_f16_e32 v106, v96, v98
	s_waitcnt vmcnt(0)
	v_mul_f16_sdwa v6, v71, v0 dst_sel:DWORD dst_unused:UNUSED_PAD src0_sel:DWORD src1_sel:WORD_1
	v_fma_f16 v48, v39, v0, -v6
	v_mul_f16_sdwa v6, v39, v0 dst_sel:DWORD dst_unused:UNUSED_PAD src0_sel:DWORD src1_sel:WORD_1
	v_fma_f16 v39, v71, v0, v6
	v_mul_f16_sdwa v6, v75, v1 dst_sel:DWORD dst_unused:UNUSED_PAD src0_sel:DWORD src1_sel:WORD_1
	v_fma_f16 v99, v4, v1, -v6
	v_mul_f16_sdwa v4, v4, v1 dst_sel:DWORD dst_unused:UNUSED_PAD src0_sel:DWORD src1_sel:WORD_1
	v_fma_f16 v75, v75, v1, v4
	;; [unrolled: 4-line block ×4, first 2 shown]
	global_load_dwordx4 v[4:7], v[79:80], off offset:616
	s_waitcnt vmcnt(0)
	v_mul_f16_sdwa v71, v77, v4 dst_sel:DWORD dst_unused:UNUSED_PAD src0_sel:DWORD src1_sel:WORD_1
	v_fma_f16 v78, v43, v4, -v71
	v_mul_f16_sdwa v43, v43, v4 dst_sel:DWORD dst_unused:UNUSED_PAD src0_sel:DWORD src1_sel:WORD_1
	v_mul_f16_sdwa v71, v52, v5 dst_sel:DWORD dst_unused:UNUSED_PAD src0_sel:DWORD src1_sel:WORD_1
	v_fma_f16 v43, v77, v4, v43
	v_fma_f16 v77, v36, v5, -v71
	global_load_dword v71, v[79:80], off offset:632
	v_mul_f16_sdwa v36, v36, v5 dst_sel:DWORD dst_unused:UNUSED_PAD src0_sel:DWORD src1_sel:WORD_1
	v_fma_f16 v36, v52, v5, v36
	v_mul_f16_sdwa v52, v51, v6 dst_sel:DWORD dst_unused:UNUSED_PAD src0_sel:DWORD src1_sel:WORD_1
	v_fma_f16 v52, v37, v6, -v52
	v_mul_f16_sdwa v37, v37, v6 dst_sel:DWORD dst_unused:UNUSED_PAD src0_sel:DWORD src1_sel:WORD_1
	v_add_f16_e32 v79, v93, v95
	v_fma_f16 v37, v51, v6, v37
	v_mul_f16_sdwa v51, v50, v7 dst_sel:DWORD dst_unused:UNUSED_PAD src0_sel:DWORD src1_sel:WORD_1
	v_fma_f16 v79, v79, -0.5, v40
	v_sub_f16_e32 v80, v90, v86
	v_fma_f16 v51, v34, v7, -v51
	v_mul_f16_sdwa v34, v34, v7 dst_sel:DWORD dst_unused:UNUSED_PAD src0_sel:DWORD src1_sel:WORD_1
	v_fma_f16 v102, v80, s5, v79
	v_fma_f16 v79, v80, s3, v79
	;; [unrolled: 1-line block ×7, first 2 shown]
	v_add_f16_e32 v104, v89, v97
	s_waitcnt vmcnt(0)
	v_mul_f16_sdwa v50, v49, v71 dst_sel:DWORD dst_unused:UNUSED_PAD src0_sel:DWORD src1_sel:WORD_1
	v_fma_f16 v50, v35, v71, -v50
	v_mul_f16_sdwa v35, v35, v71 dst_sel:DWORD dst_unused:UNUSED_PAD src0_sel:DWORD src1_sel:WORD_1
	v_fma_f16 v35, v49, v71, v35
	v_add_f16_e32 v49, v40, v89
	v_fma_f16 v40, v104, -0.5, v40
	v_add_f16_e32 v49, v49, v93
	v_fma_f16 v104, v103, s3, v40
	v_fma_f16 v40, v103, s5, v40
	v_add_f16_e32 v103, v82, v84
	v_add_f16_e32 v49, v49, v95
	v_fma_f16 v103, v103, -0.5, v81
	v_sub_f16_e32 v89, v89, v97
	v_add_f16_e32 v49, v49, v97
	v_fma_f16 v104, v80, s12, v104
	v_fma_f16 v40, v80, s2, v40
	v_fma_f16 v97, v89, s3, v103
	v_sub_f16_e32 v93, v93, v95
	v_fma_f16 v104, v105, s4, v104
	v_fma_f16 v40, v105, s4, v40
	;; [unrolled: 1-line block ×3, first 2 shown]
	v_sub_f16_e32 v97, v90, v82
	v_sub_f16_e32 v105, v86, v84
	v_fma_f16 v103, v89, s5, v103
	v_add_f16_e32 v80, v81, v90
	v_add_f16_e32 v97, v97, v105
	v_fma_f16 v103, v93, s12, v103
	v_add_f16_e32 v80, v80, v82
	v_fma_f16 v95, v97, s4, v95
	v_fma_f16 v97, v97, s4, v103
	v_add_f16_e32 v103, v90, v86
	v_add_f16_e32 v80, v80, v84
	v_fma_f16 v81, v103, -0.5, v81
	v_add_f16_e32 v80, v80, v86
	v_fma_f16 v103, v93, s5, v81
	v_sub_f16_e32 v82, v82, v90
	v_sub_f16_e32 v84, v84, v86
	v_fma_f16 v81, v93, s3, v81
	v_add_f16_e32 v86, v94, v96
	v_fma_f16 v103, v89, s2, v103
	v_add_f16_e32 v82, v82, v84
	v_fma_f16 v81, v89, s12, v81
	v_fma_f16 v86, v86, -0.5, v88
	v_sub_f16_e32 v89, v92, v87
	v_fma_f16 v84, v82, s4, v103
	v_fma_f16 v90, v89, s5, v86
	v_sub_f16_e32 v93, v83, v85
	v_sub_f16_e32 v103, v91, v94
	;; [unrolled: 1-line block ×3, first 2 shown]
	v_fma_f16 v86, v89, s3, v86
	v_fma_f16 v90, v93, s12, v90
	v_add_f16_e32 v103, v103, v105
	v_fma_f16 v86, v93, s2, v86
	v_fma_f16 v90, v103, s4, v90
	;; [unrolled: 1-line block ×3, first 2 shown]
	v_add_f16_e32 v103, v91, v98
	v_fma_f16 v81, v82, s4, v81
	v_add_f16_e32 v82, v88, v91
	v_fma_f16 v88, v103, -0.5, v88
	v_add_f16_e32 v82, v82, v94
	v_fma_f16 v103, v93, s3, v88
	v_fma_f16 v88, v93, s5, v88
	v_add_f16_e32 v93, v83, v85
	v_add_f16_e32 v82, v82, v96
	v_sub_f16_e32 v105, v94, v91
	v_fma_f16 v93, v93, -0.5, v41
	v_sub_f16_e32 v91, v91, v98
	v_add_f16_e32 v82, v82, v98
	v_fma_f16 v103, v89, s12, v103
	v_add_f16_e32 v105, v105, v106
	v_fma_f16 v88, v89, s2, v88
	v_fma_f16 v98, v91, s3, v93
	v_sub_f16_e32 v94, v94, v96
	v_fma_f16 v103, v105, s4, v103
	v_fma_f16 v88, v105, s4, v88
	;; [unrolled: 1-line block ×3, first 2 shown]
	v_sub_f16_e32 v98, v92, v83
	v_sub_f16_e32 v105, v87, v85
	v_fma_f16 v93, v91, s5, v93
	v_add_f16_e32 v98, v98, v105
	v_fma_f16 v93, v94, s12, v93
	v_add_f16_e32 v89, v41, v92
	v_fma_f16 v96, v98, s4, v96
	v_fma_f16 v93, v98, s4, v93
	v_add_f16_e32 v98, v92, v87
	v_add_f16_e32 v89, v89, v83
	v_fma_f16 v41, v98, -0.5, v41
	v_add_f16_e32 v89, v89, v85
	v_fma_f16 v98, v94, s5, v41
	v_sub_f16_e32 v83, v83, v92
	v_sub_f16_e32 v85, v85, v87
	v_fma_f16 v98, v91, s2, v98
	v_add_f16_e32 v83, v83, v85
	v_fma_f16 v41, v94, s3, v41
	v_fma_f16 v85, v83, s4, v98
	;; [unrolled: 1-line block ×4, first 2 shown]
	v_mul_f16_e32 v92, 0x3b9c, v85
	v_mul_f16_e32 v98, 0x34f2, v88
	v_fma_f16 v92, v103, s4, v92
	v_fma_f16 v98, v41, s5, -v98
	v_mul_f16_e32 v103, 0xbb9c, v103
	v_mul_f16_e32 v41, 0x34f2, v41
	;; [unrolled: 1-line block ×3, first 2 shown]
	v_fma_f16 v85, v85, s4, v103
	v_fma_f16 v41, v88, s3, -v41
	v_mul_f16_e32 v83, 0x38b4, v96
	v_fma_f16 v106, v93, s12, -v106
	v_add_f16_e32 v103, v84, v85
	v_add_f16_e32 v88, v81, v41
	v_sub_f16_e32 v84, v84, v85
	v_sub_f16_e32 v85, v81, v41
	v_add_f16_e32 v41, v101, v77
	v_add_f16_e32 v89, v89, v87
	v_fma_f16 v83, v90, s13, v83
	v_add_f16_e32 v94, v104, v92
	v_add_f16_e32 v107, v79, v106
	v_sub_f16_e32 v92, v104, v92
	v_sub_f16_e32 v104, v79, v106
	v_fma_f16 v41, v41, -0.5, v38
	v_sub_f16_e32 v79, v75, v34
	v_add_f16_e32 v87, v49, v82
	v_add_f16_e32 v91, v102, v83
	;; [unrolled: 1-line block ×3, first 2 shown]
	v_sub_f16_e32 v49, v49, v82
	v_sub_f16_e32 v102, v102, v83
	;; [unrolled: 1-line block ×3, first 2 shown]
	v_fma_f16 v80, v79, s5, v41
	v_sub_f16_e32 v81, v42, v36
	v_sub_f16_e32 v82, v99, v101
	;; [unrolled: 1-line block ×3, first 2 shown]
	v_fma_f16 v41, v79, s3, v41
	v_fma_f16 v80, v81, s12, v80
	v_add_f16_e32 v82, v82, v83
	v_fma_f16 v41, v81, s2, v41
	v_mul_f16_e32 v90, 0xb8b4, v90
	v_fma_f16 v80, v82, s4, v80
	v_fma_f16 v82, v82, s4, v41
	v_add_f16_e32 v41, v99, v51
	v_add_f16_e32 v105, v40, v98
	v_fma_f16 v90, v96, s13, v90
	v_sub_f16_e32 v98, v40, v98
	v_add_f16_e32 v40, v38, v99
	v_fma_f16 v38, v41, -0.5, v38
	v_add_f16_e32 v96, v95, v90
	v_sub_f16_e32 v90, v95, v90
	v_fma_f16 v41, v81, s3, v38
	v_sub_f16_e32 v83, v101, v99
	v_sub_f16_e32 v95, v77, v51
	v_fma_f16 v38, v81, s5, v38
	v_add_f16_e32 v83, v83, v95
	v_fma_f16 v38, v79, s2, v38
	v_fma_f16 v41, v79, s12, v41
	;; [unrolled: 1-line block ×3, first 2 shown]
	v_add_f16_e32 v38, v74, v75
	v_add_f16_e32 v38, v38, v42
	;; [unrolled: 1-line block ×4, first 2 shown]
	v_mul_f16_e32 v93, 0x3a79, v93
	v_add_f16_e32 v40, v40, v77
	v_add_f16_e32 v81, v38, v34
	;; [unrolled: 1-line block ×3, first 2 shown]
	v_fma_f16 v86, v86, s2, -v93
	v_add_f16_e32 v40, v40, v51
	v_fma_f16 v38, v38, -0.5, v74
	v_sub_f16_e32 v51, v99, v51
	v_add_f16_e32 v93, v97, v86
	v_sub_f16_e32 v86, v97, v86
	v_fma_f16 v41, v83, s4, v41
	v_fma_f16 v83, v51, s3, v38
	v_sub_f16_e32 v77, v101, v77
	v_sub_f16_e32 v95, v75, v42
	;; [unrolled: 1-line block ×3, first 2 shown]
	v_fma_f16 v38, v51, s5, v38
	v_fma_f16 v83, v77, s2, v83
	v_add_f16_e32 v95, v95, v97
	v_fma_f16 v38, v77, s12, v38
	v_fma_f16 v83, v95, s4, v83
	;; [unrolled: 1-line block ×3, first 2 shown]
	v_add_f16_e32 v38, v75, v34
	v_fma_f16 v38, v38, -0.5, v74
	v_fma_f16 v74, v77, s5, v38
	v_sub_f16_e32 v42, v42, v75
	v_sub_f16_e32 v34, v36, v34
	v_fma_f16 v36, v77, s3, v38
	v_fma_f16 v74, v51, s2, v74
	v_add_f16_e32 v34, v42, v34
	v_fma_f16 v36, v51, s12, v36
	v_fma_f16 v97, v34, s4, v74
	;; [unrolled: 1-line block ×3, first 2 shown]
	v_add_f16_e32 v34, v48, v100
	v_add_f16_e32 v34, v34, v78
	;; [unrolled: 1-line block ×5, first 2 shown]
	v_fma_f16 v34, v34, -0.5, v48
	v_sub_f16_e32 v36, v76, v35
	v_fma_f16 v38, v36, s5, v34
	v_sub_f16_e32 v74, v43, v37
	v_sub_f16_e32 v75, v100, v78
	;; [unrolled: 1-line block ×3, first 2 shown]
	v_fma_f16 v34, v36, s3, v34
	v_add_f16_e32 v75, v75, v77
	v_fma_f16 v34, v74, s2, v34
	v_fma_f16 v99, v75, s4, v34
	v_add_f16_e32 v34, v100, v50
	v_fma_f16 v38, v74, s12, v38
	v_fma_f16 v34, v34, -0.5, v48
	v_fma_f16 v77, v75, s4, v38
	v_fma_f16 v38, v74, s3, v34
	v_sub_f16_e32 v48, v78, v100
	v_sub_f16_e32 v75, v52, v50
	v_fma_f16 v34, v74, s5, v34
	v_fma_f16 v38, v36, s12, v38
	v_add_f16_e32 v48, v48, v75
	v_fma_f16 v34, v36, s2, v34
	v_fma_f16 v101, v48, s4, v38
	;; [unrolled: 1-line block ×3, first 2 shown]
	v_add_f16_e32 v34, v39, v76
	v_add_f16_e32 v34, v34, v43
	;; [unrolled: 1-line block ×5, first 2 shown]
	v_fma_f16 v34, v34, -0.5, v39
	v_sub_f16_e32 v36, v100, v50
	v_fma_f16 v38, v36, s3, v34
	v_sub_f16_e32 v50, v78, v52
	v_sub_f16_e32 v52, v76, v43
	;; [unrolled: 1-line block ×3, first 2 shown]
	v_fma_f16 v34, v36, s5, v34
	v_fma_f16 v38, v50, s2, v38
	v_add_f16_e32 v52, v52, v74
	v_fma_f16 v34, v50, s12, v34
	v_fma_f16 v74, v52, s4, v38
	;; [unrolled: 1-line block ×3, first 2 shown]
	v_add_f16_e32 v34, v76, v35
	v_fma_f16 v34, v34, -0.5, v39
	v_fma_f16 v38, v50, s5, v34
	v_sub_f16_e32 v39, v43, v76
	v_sub_f16_e32 v35, v37, v35
	v_fma_f16 v38, v36, s2, v38
	v_add_f16_e32 v35, v39, v35
	v_fma_f16 v34, v50, s3, v34
	v_fma_f16 v39, v35, s4, v38
	;; [unrolled: 1-line block ×3, first 2 shown]
	v_mul_f16_e32 v76, 0xb8b4, v77
	v_fma_f16 v43, v35, s4, v34
	v_mul_f16_e32 v36, 0x3b9c, v39
	v_fma_f16 v111, v74, s13, v76
	v_mul_f16_e32 v76, 0xbb9c, v101
	v_mul_f16_e32 v35, 0x38b4, v74
	v_fma_f16 v100, v101, s4, v36
	v_mul_f16_e32 v38, 0x3a79, v99
	v_fma_f16 v101, v39, s4, v76
	v_mul_f16_e32 v39, 0x34f2, v43
	v_fma_f16 v50, v77, s13, v35
	v_mul_f16_e32 v37, 0x34f2, v48
	v_fma_f16 v110, v52, s12, -v38
	v_fma_f16 v48, v48, s3, -v39
	v_mul_f16_e32 v39, 0x3a79, v52
	v_add_f16_e32 v34, v40, v42
	v_add_f16_e32 v35, v80, v50
	v_fma_f16 v109, v43, s5, -v37
	v_add_f16_e32 v38, v82, v110
	v_add_f16_e32 v77, v51, v48
	v_fma_f16 v52, v99, s2, -v39
	v_sub_f16_e32 v39, v40, v42
	v_sub_f16_e32 v40, v80, v50
	;; [unrolled: 1-line block ×4, first 2 shown]
	v_pack_b32_f16 v48, v87, v108
	v_pack_b32_f16 v50, v91, v96
	ds_write2_b32 v54, v48, v50 offset1:160
	v_pack_b32_f16 v48, v94, v103
	v_pack_b32_f16 v50, v105, v88
	ds_write2_b32 v47, v48, v50 offset0:64 offset1:224
	v_pack_b32_f16 v47, v107, v93
	v_pack_b32_f16 v48, v49, v89
	ds_write2_b32 v53, v47, v48 offset1:160
	v_pack_b32_f16 v47, v102, v90
	v_pack_b32_f16 v48, v92, v84
	v_add_f16_e32 v36, v41, v100
	v_add_f16_e32 v37, v79, v109
	;; [unrolled: 1-line block ×6, first 2 shown]
	v_sub_f16_e32 v41, v41, v100
	v_sub_f16_e32 v42, v79, v109
	;; [unrolled: 1-line block ×6, first 2 shown]
	ds_write2_b32 v46, v47, v48 offset0:64 offset1:224
	v_pack_b32_f16 v46, v98, v85
	v_pack_b32_f16 v47, v104, v86
	ds_write2_b32 v45, v46, v47 offset1:160
	s_and_saveexec_b64 s[2:3], s[0:1]
	s_cbranch_execz .LBB0_11
; %bb.10:
	s_mov_b32 s4, 0x5040100
	v_perm_b32 v45, v75, v34, s4
	v_perm_b32 v46, v74, v35, s4
	v_add_u32_e32 v47, 0x100, v54
	ds_write2_b32 v47, v45, v46 offset0:36 offset1:196
	v_perm_b32 v45, v76, v36, s4
	v_perm_b32 v46, v77, v37, s4
	v_add_u32_e32 v47, 0x600, v54
	ds_write2_b32 v47, v45, v46 offset0:36 offset1:196
	;; [unrolled: 4-line block ×5, first 2 shown]
.LBB0_11:
	s_or_b64 exec, exec, s[2:3]
	s_add_u32 s2, s14, 0x1900
	s_addc_u32 s3, s15, 0
	v_lshlrev_b32_e32 v45, 2, v65
	s_waitcnt lgkmcnt(0)
	s_barrier
	global_load_dword v51, v45, s[2:3]
	global_load_dword v53, v45, s[2:3] offset:640
	global_load_dword v94, v45, s[2:3] offset:1280
	global_load_dword v95, v45, s[2:3] offset:1920
	global_load_dword v96, v45, s[2:3] offset:2560
	global_load_dword v97, v45, s[2:3] offset:3200
	global_load_dword v98, v45, s[2:3] offset:3840
	global_load_dword v99, v44, s[2:3]
	v_mov_b32_e32 v44, s3
	v_add_co_u32_e32 v46, vcc, s2, v45
	s_movk_i32 s4, 0x1000
	v_addc_co_u32_e32 v47, vcc, 0, v44, vcc
	v_add_co_u32_e32 v44, vcc, s4, v46
	v_addc_co_u32_e32 v45, vcc, 0, v47, vcc
	global_load_dword v100, v[44:45], off offset:384
	global_load_dword v101, v[44:45], off offset:1664
	ds_read2_b32 v[84:85], v54 offset1:160
	v_add_u32_e32 v49, 0x400, v54
	v_add_u32_e32 v48, 0xa00, v54
	;; [unrolled: 1-line block ×4, first 2 shown]
	ds_read2_b32 v[86:87], v49 offset0:64 offset1:224
	ds_read2_b32 v[88:89], v48 offset1:160
	ds_read2_b32 v[90:91], v50 offset0:64 offset1:224
	ds_read2_b32 v[92:93], v52 offset1:160
	s_waitcnt lgkmcnt(4)
	v_lshrrev_b32_e32 v102, 16, v84
	v_lshrrev_b32_e32 v103, 16, v85
	s_waitcnt lgkmcnt(3)
	v_lshrrev_b32_e32 v104, 16, v86
	v_lshrrev_b32_e32 v105, 16, v87
	;; [unrolled: 3-line block ×4, first 2 shown]
	s_waitcnt lgkmcnt(0)
	v_lshrrev_b32_e32 v110, 16, v92
	s_waitcnt vmcnt(9)
	v_mul_f16_sdwa v111, v102, v51 dst_sel:DWORD dst_unused:UNUSED_PAD src0_sel:DWORD src1_sel:WORD_1
	v_mul_f16_sdwa v112, v84, v51 dst_sel:DWORD dst_unused:UNUSED_PAD src0_sel:DWORD src1_sel:WORD_1
	s_waitcnt vmcnt(8)
	v_mul_f16_sdwa v113, v103, v53 dst_sel:DWORD dst_unused:UNUSED_PAD src0_sel:DWORD src1_sel:WORD_1
	v_mul_f16_sdwa v114, v85, v53 dst_sel:DWORD dst_unused:UNUSED_PAD src0_sel:DWORD src1_sel:WORD_1
	;; [unrolled: 3-line block ×6, first 2 shown]
	v_fma_f16 v84, v84, v51, -v111
	v_fma_f16 v51, v102, v51, v112
	v_fma_f16 v85, v85, v53, -v113
	v_fma_f16 v53, v103, v53, v114
	;; [unrolled: 2-line block ×6, first 2 shown]
	v_pack_b32_f16 v51, v84, v51
	v_pack_b32_f16 v53, v85, v53
	s_waitcnt vmcnt(3)
	v_mul_f16_sdwa v123, v108, v98 dst_sel:DWORD dst_unused:UNUSED_PAD src0_sel:DWORD src1_sel:WORD_1
	v_mul_f16_sdwa v124, v90, v98 dst_sel:DWORD dst_unused:UNUSED_PAD src0_sel:DWORD src1_sel:WORD_1
	v_pack_b32_f16 v84, v86, v94
	v_pack_b32_f16 v85, v87, v95
	;; [unrolled: 1-line block ×4, first 2 shown]
	ds_write2_b32 v54, v51, v53 offset1:160
	ds_write2_b32 v49, v84, v85 offset0:64 offset1:224
	ds_write2_b32 v48, v86, v87 offset1:160
	s_waitcnt vmcnt(1)
	v_mul_f16_sdwa v51, v109, v100 dst_sel:DWORD dst_unused:UNUSED_PAD src0_sel:DWORD src1_sel:WORD_1
	v_mul_f16_sdwa v53, v91, v100 dst_sel:DWORD dst_unused:UNUSED_PAD src0_sel:DWORD src1_sel:WORD_1
	v_fma_f16 v90, v90, v98, -v123
	v_fma_f16 v98, v108, v98, v124
	v_fma_f16 v51, v91, v100, -v51
	v_fma_f16 v53, v109, v100, v53
	v_mul_f16_sdwa v125, v110, v99 dst_sel:DWORD dst_unused:UNUSED_PAD src0_sel:DWORD src1_sel:WORD_1
	v_pack_b32_f16 v88, v90, v98
	v_pack_b32_f16 v51, v51, v53
	v_mul_f16_sdwa v53, v92, v99 dst_sel:DWORD dst_unused:UNUSED_PAD src0_sel:DWORD src1_sel:WORD_1
	ds_write2_b32 v50, v88, v51 offset0:64 offset1:224
	v_fma_f16 v51, v92, v99, -v125
	v_fma_f16 v53, v110, v99, v53
	v_pack_b32_f16 v51, v51, v53
	v_lshrrev_b32_e32 v53, 16, v93
	s_waitcnt vmcnt(0)
	v_mul_f16_sdwa v84, v53, v101 dst_sel:DWORD dst_unused:UNUSED_PAD src0_sel:DWORD src1_sel:WORD_1
	v_mul_f16_sdwa v85, v93, v101 dst_sel:DWORD dst_unused:UNUSED_PAD src0_sel:DWORD src1_sel:WORD_1
	v_fma_f16 v84, v93, v101, -v84
	v_fma_f16 v53, v53, v101, v85
	v_pack_b32_f16 v53, v84, v53
	ds_write2_b32 v52, v51, v53 offset1:160
	s_and_saveexec_b64 s[2:3], s[0:1]
	s_cbranch_execz .LBB0_13
; %bb.12:
	global_load_dword v86, v[46:47], off offset:400
	v_add_u32_e32 v51, 0x100, v54
	ds_read2_b32 v[84:85], v51 offset0:36 offset1:196
	s_waitcnt lgkmcnt(0)
	v_lshrrev_b32_e32 v53, 16, v84
	s_waitcnt vmcnt(0)
	v_mul_f16_sdwa v87, v53, v86 dst_sel:DWORD dst_unused:UNUSED_PAD src0_sel:DWORD src1_sel:WORD_1
	v_fma_f16 v87, v84, v86, -v87
	v_mul_f16_sdwa v84, v84, v86 dst_sel:DWORD dst_unused:UNUSED_PAD src0_sel:DWORD src1_sel:WORD_1
	v_fma_f16 v53, v53, v86, v84
	global_load_dword v86, v[46:47], off offset:1040
	v_lshrrev_b32_e32 v84, 16, v85
	v_pack_b32_f16 v53, v87, v53
	s_waitcnt vmcnt(0)
	v_mul_f16_sdwa v87, v84, v86 dst_sel:DWORD dst_unused:UNUSED_PAD src0_sel:DWORD src1_sel:WORD_1
	v_fma_f16 v87, v85, v86, -v87
	v_mul_f16_sdwa v85, v85, v86 dst_sel:DWORD dst_unused:UNUSED_PAD src0_sel:DWORD src1_sel:WORD_1
	v_fma_f16 v84, v84, v86, v85
	global_load_dword v86, v[46:47], off offset:1680
	v_pack_b32_f16 v84, v87, v84
	ds_write2_b32 v51, v53, v84 offset0:36 offset1:196
	v_add_u32_e32 v51, 0x600, v54
	ds_read2_b32 v[84:85], v51 offset0:36 offset1:196
	s_waitcnt lgkmcnt(0)
	v_lshrrev_b32_e32 v53, 16, v84
	s_waitcnt vmcnt(0)
	v_mul_f16_sdwa v87, v53, v86 dst_sel:DWORD dst_unused:UNUSED_PAD src0_sel:DWORD src1_sel:WORD_1
	v_fma_f16 v87, v84, v86, -v87
	v_mul_f16_sdwa v84, v84, v86 dst_sel:DWORD dst_unused:UNUSED_PAD src0_sel:DWORD src1_sel:WORD_1
	v_fma_f16 v53, v53, v86, v84
	global_load_dword v86, v[46:47], off offset:2320
	v_lshrrev_b32_e32 v84, 16, v85
	v_pack_b32_f16 v53, v87, v53
	s_waitcnt vmcnt(0)
	v_mul_f16_sdwa v87, v84, v86 dst_sel:DWORD dst_unused:UNUSED_PAD src0_sel:DWORD src1_sel:WORD_1
	v_fma_f16 v87, v85, v86, -v87
	v_mul_f16_sdwa v85, v85, v86 dst_sel:DWORD dst_unused:UNUSED_PAD src0_sel:DWORD src1_sel:WORD_1
	v_fma_f16 v84, v84, v86, v85
	global_load_dword v86, v[46:47], off offset:2960
	v_pack_b32_f16 v84, v87, v84
	global_load_dword v46, v[46:47], off offset:3600
	ds_write2_b32 v51, v53, v84 offset0:36 offset1:196
	v_add_u32_e32 v51, 0xb00, v54
	ds_read2_b32 v[84:85], v51 offset0:36 offset1:196
	s_waitcnt lgkmcnt(0)
	v_lshrrev_b32_e32 v53, 16, v84
	s_waitcnt vmcnt(1)
	v_mul_f16_sdwa v87, v53, v86 dst_sel:DWORD dst_unused:UNUSED_PAD src0_sel:DWORD src1_sel:WORD_1
	v_fma_f16 v87, v84, v86, -v87
	v_mul_f16_sdwa v84, v84, v86 dst_sel:DWORD dst_unused:UNUSED_PAD src0_sel:DWORD src1_sel:WORD_1
	v_fma_f16 v53, v53, v86, v84
	v_lshrrev_b32_e32 v84, 16, v85
	s_waitcnt vmcnt(0)
	v_mul_f16_sdwa v47, v84, v46 dst_sel:DWORD dst_unused:UNUSED_PAD src0_sel:DWORD src1_sel:WORD_1
	v_fma_f16 v47, v85, v46, -v47
	v_mul_f16_sdwa v85, v85, v46 dst_sel:DWORD dst_unused:UNUSED_PAD src0_sel:DWORD src1_sel:WORD_1
	v_fma_f16 v46, v84, v46, v85
	global_load_dword v84, v[44:45], off offset:144
	v_pack_b32_f16 v53, v87, v53
	v_pack_b32_f16 v46, v47, v46
	ds_write2_b32 v51, v53, v46 offset0:36 offset1:196
	v_add_u32_e32 v51, 0x1000, v54
	ds_read2_b32 v[46:47], v51 offset0:36 offset1:196
	s_waitcnt lgkmcnt(0)
	v_lshrrev_b32_e32 v53, 16, v46
	s_waitcnt vmcnt(0)
	v_mul_f16_sdwa v85, v53, v84 dst_sel:DWORD dst_unused:UNUSED_PAD src0_sel:DWORD src1_sel:WORD_1
	v_fma_f16 v85, v46, v84, -v85
	v_mul_f16_sdwa v46, v46, v84 dst_sel:DWORD dst_unused:UNUSED_PAD src0_sel:DWORD src1_sel:WORD_1
	v_fma_f16 v46, v53, v84, v46
	global_load_dword v84, v[44:45], off offset:784
	v_lshrrev_b32_e32 v53, 16, v47
	v_pack_b32_f16 v46, v85, v46
	s_waitcnt vmcnt(0)
	v_mul_f16_sdwa v85, v53, v84 dst_sel:DWORD dst_unused:UNUSED_PAD src0_sel:DWORD src1_sel:WORD_1
	v_fma_f16 v85, v47, v84, -v85
	v_mul_f16_sdwa v47, v47, v84 dst_sel:DWORD dst_unused:UNUSED_PAD src0_sel:DWORD src1_sel:WORD_1
	v_fma_f16 v47, v53, v84, v47
	global_load_dword v84, v[44:45], off offset:1424
	v_pack_b32_f16 v47, v85, v47
	global_load_dword v44, v[44:45], off offset:2064
	ds_write2_b32 v51, v46, v47 offset0:36 offset1:196
	v_add_u32_e32 v51, 0x1500, v54
	ds_read2_b32 v[46:47], v51 offset0:36 offset1:196
	s_waitcnt lgkmcnt(0)
	v_lshrrev_b32_e32 v53, 16, v46
	s_waitcnt vmcnt(1)
	v_mul_f16_sdwa v85, v53, v84 dst_sel:DWORD dst_unused:UNUSED_PAD src0_sel:DWORD src1_sel:WORD_1
	v_fma_f16 v85, v46, v84, -v85
	v_mul_f16_sdwa v46, v46, v84 dst_sel:DWORD dst_unused:UNUSED_PAD src0_sel:DWORD src1_sel:WORD_1
	v_fma_f16 v46, v53, v84, v46
	v_lshrrev_b32_e32 v53, 16, v47
	s_waitcnt vmcnt(0)
	v_mul_f16_sdwa v45, v53, v44 dst_sel:DWORD dst_unused:UNUSED_PAD src0_sel:DWORD src1_sel:WORD_1
	v_fma_f16 v45, v47, v44, -v45
	v_mul_f16_sdwa v47, v47, v44 dst_sel:DWORD dst_unused:UNUSED_PAD src0_sel:DWORD src1_sel:WORD_1
	v_fma_f16 v44, v53, v44, v47
	v_pack_b32_f16 v46, v85, v46
	v_pack_b32_f16 v44, v45, v44
	ds_write2_b32 v51, v46, v44 offset0:36 offset1:196
.LBB0_13:
	s_or_b64 exec, exec, s[2:3]
	s_waitcnt lgkmcnt(0)
	s_barrier
	ds_read2_b32 v[46:47], v54 offset1:160
	ds_read2_b32 v[44:45], v49 offset0:64 offset1:224
	ds_read2_b32 v[48:49], v48 offset1:160
	ds_read2_b32 v[50:51], v50 offset0:64 offset1:224
	ds_read2_b32 v[52:53], v52 offset1:160
	s_and_saveexec_b64 s[2:3], s[0:1]
	s_cbranch_execz .LBB0_15
; %bb.14:
	v_add_u32_e32 v34, 0x100, v54
	v_add_u32_e32 v36, 0x600, v54
	;; [unrolled: 1-line block ×5, first 2 shown]
	ds_read2_b32 v[34:35], v34 offset0:36 offset1:196
	ds_read2_b32 v[36:37], v36 offset0:36 offset1:196
	;; [unrolled: 1-line block ×5, first 2 shown]
	s_waitcnt lgkmcnt(4)
	v_lshrrev_b32_e32 v75, 16, v34
	v_lshrrev_b32_e32 v74, 16, v35
	s_waitcnt lgkmcnt(3)
	v_lshrrev_b32_e32 v76, 16, v36
	v_lshrrev_b32_e32 v77, 16, v37
	;; [unrolled: 3-line block ×5, first 2 shown]
.LBB0_15:
	s_or_b64 exec, exec, s[2:3]
	s_waitcnt lgkmcnt(1)
	v_add_f16_e32 v84, v48, v50
	v_fma_f16 v84, v84, -0.5, v46
	s_waitcnt lgkmcnt(0)
	v_sub_f16_sdwa v85, v44, v52 dst_sel:DWORD dst_unused:UNUSED_PAD src0_sel:WORD_1 src1_sel:WORD_1
	s_mov_b32 s12, 0xbb9c
	s_movk_i32 s2, 0x3b9c
	v_fma_f16 v86, v85, s12, v84
	v_sub_f16_sdwa v87, v48, v50 dst_sel:DWORD dst_unused:UNUSED_PAD src0_sel:WORD_1 src1_sel:WORD_1
	s_mov_b32 s4, 0xb8b4
	v_sub_f16_e32 v88, v52, v50
	v_sub_f16_e32 v89, v44, v48
	v_fma_f16 v84, v85, s2, v84
	s_movk_i32 s3, 0x38b4
	v_fma_f16 v86, v87, s4, v86
	v_add_f16_e32 v88, v89, v88
	s_movk_i32 s5, 0x34f2
	v_fma_f16 v84, v87, s3, v84
	v_fma_f16 v86, v88, s5, v86
	;; [unrolled: 1-line block ×3, first 2 shown]
	v_add_f16_e32 v88, v44, v52
	v_fma_f16 v88, v88, -0.5, v46
	v_fma_f16 v89, v87, s2, v88
	v_fma_f16 v87, v87, s12, v88
	v_pk_add_f16 v104, v46, v44
	v_fma_f16 v89, v85, s4, v89
	v_sub_f16_e32 v90, v50, v52
	v_sub_f16_e32 v91, v48, v44
	v_fma_f16 v85, v85, s3, v87
	v_add_f16_sdwa v87, v48, v50 dst_sel:DWORD dst_unused:UNUSED_PAD src0_sel:WORD_1 src1_sel:WORD_1
	v_lshrrev_b32_e32 v46, 16, v46
	v_add_f16_e32 v90, v91, v90
	v_fma_f16 v87, v87, -0.5, v46
	v_sub_f16_e32 v88, v44, v52
	v_fma_f16 v89, v90, s5, v89
	v_fma_f16 v85, v90, s5, v85
	;; [unrolled: 1-line block ×3, first 2 shown]
	v_sub_f16_e32 v91, v48, v50
	v_sub_f16_sdwa v92, v44, v48 dst_sel:DWORD dst_unused:UNUSED_PAD src0_sel:WORD_1 src1_sel:WORD_1
	v_sub_f16_sdwa v93, v52, v50 dst_sel:DWORD dst_unused:UNUSED_PAD src0_sel:WORD_1 src1_sel:WORD_1
	v_fma_f16 v87, v88, s12, v87
	v_fma_f16 v90, v91, s3, v90
	v_add_f16_e32 v92, v92, v93
	v_fma_f16 v87, v91, s4, v87
	v_fma_f16 v90, v92, s5, v90
	;; [unrolled: 1-line block ×3, first 2 shown]
	v_add_f16_sdwa v92, v44, v52 dst_sel:DWORD dst_unused:UNUSED_PAD src0_sel:WORD_1 src1_sel:WORD_1
	v_fma_f16 v46, v92, -0.5, v46
	v_fma_f16 v92, v91, s12, v46
	v_sub_f16_sdwa v44, v48, v44 dst_sel:DWORD dst_unused:UNUSED_PAD src0_sel:WORD_1 src1_sel:WORD_1
	v_sub_f16_sdwa v93, v50, v52 dst_sel:DWORD dst_unused:UNUSED_PAD src0_sel:WORD_1 src1_sel:WORD_1
	v_fma_f16 v46, v91, s2, v46
	v_fma_f16 v92, v88, s3, v92
	v_add_f16_e32 v44, v44, v93
	v_fma_f16 v46, v88, s4, v46
	v_fma_f16 v92, v44, s5, v92
	;; [unrolled: 1-line block ×3, first 2 shown]
	v_add_f16_e32 v46, v49, v51
	v_fma_f16 v46, v46, -0.5, v47
	v_sub_f16_sdwa v88, v45, v53 dst_sel:DWORD dst_unused:UNUSED_PAD src0_sel:WORD_1 src1_sel:WORD_1
	v_fma_f16 v91, v88, s12, v46
	v_sub_f16_sdwa v93, v49, v51 dst_sel:DWORD dst_unused:UNUSED_PAD src0_sel:WORD_1 src1_sel:WORD_1
	v_sub_f16_e32 v94, v53, v51
	v_sub_f16_e32 v95, v45, v49
	v_fma_f16 v46, v88, s2, v46
	v_fma_f16 v91, v93, s4, v91
	v_add_f16_e32 v94, v95, v94
	v_fma_f16 v46, v93, s3, v46
	v_fma_f16 v91, v94, s5, v91
	;; [unrolled: 1-line block ×3, first 2 shown]
	v_add_f16_e32 v94, v45, v53
	v_fma_f16 v94, v94, -0.5, v47
	v_fma_f16 v95, v93, s2, v94
	v_fma_f16 v93, v93, s12, v94
	v_pk_add_f16 v105, v47, v45
	v_fma_f16 v95, v88, s4, v95
	v_sub_f16_e32 v96, v51, v53
	v_sub_f16_e32 v97, v49, v45
	v_fma_f16 v88, v88, s3, v93
	v_add_f16_sdwa v93, v49, v51 dst_sel:DWORD dst_unused:UNUSED_PAD src0_sel:WORD_1 src1_sel:WORD_1
	v_lshrrev_b32_e32 v47, 16, v47
	v_add_f16_e32 v96, v97, v96
	v_fma_f16 v93, v93, -0.5, v47
	v_sub_f16_e32 v94, v45, v53
	v_fma_f16 v95, v96, s5, v95
	v_fma_f16 v88, v96, s5, v88
	;; [unrolled: 1-line block ×3, first 2 shown]
	v_sub_f16_e32 v97, v49, v51
	v_sub_f16_sdwa v98, v45, v49 dst_sel:DWORD dst_unused:UNUSED_PAD src0_sel:WORD_1 src1_sel:WORD_1
	v_sub_f16_sdwa v99, v53, v51 dst_sel:DWORD dst_unused:UNUSED_PAD src0_sel:WORD_1 src1_sel:WORD_1
	v_fma_f16 v93, v94, s12, v93
	v_fma_f16 v96, v97, s3, v96
	v_add_f16_e32 v98, v98, v99
	v_fma_f16 v93, v97, s4, v93
	v_fma_f16 v96, v98, s5, v96
	;; [unrolled: 1-line block ×3, first 2 shown]
	v_add_f16_sdwa v98, v45, v53 dst_sel:DWORD dst_unused:UNUSED_PAD src0_sel:WORD_1 src1_sel:WORD_1
	v_fma_f16 v47, v98, -0.5, v47
	v_fma_f16 v98, v97, s12, v47
	v_sub_f16_sdwa v45, v49, v45 dst_sel:DWORD dst_unused:UNUSED_PAD src0_sel:WORD_1 src1_sel:WORD_1
	v_sub_f16_sdwa v99, v51, v53 dst_sel:DWORD dst_unused:UNUSED_PAD src0_sel:WORD_1 src1_sel:WORD_1
	v_fma_f16 v47, v97, s2, v47
	v_fma_f16 v98, v94, s3, v98
	v_add_f16_e32 v45, v45, v99
	v_fma_f16 v47, v94, s4, v47
	v_fma_f16 v98, v45, s5, v98
	;; [unrolled: 1-line block ×3, first 2 shown]
	v_mul_f16_e32 v97, 0xbb9c, v45
	v_mul_f16_e32 v45, 0xb4f2, v45
	s_mov_b32 s14, 0xb4f2
	v_fma_f16 v45, v88, s2, v45
	v_mul_f16_e32 v47, 0xb8b4, v96
	v_fma_f16 v97, v88, s14, v97
	v_mul_f16_e32 v99, 0xb8b4, v93
	s_mov_b32 s15, 0xba79
	v_add_f16_e32 v112, v44, v45
	v_mul_f16_e32 v88, 0xba79, v93
	v_sub_f16_e32 v120, v44, v45
	v_add_f16_e32 v44, v40, v38
	v_fma_f16 v47, v91, s13, v47
	v_fma_f16 v99, v46, s15, v99
	;; [unrolled: 1-line block ×3, first 2 shown]
	v_fma_f16 v44, v44, -0.5, v34
	v_sub_f16_e32 v45, v76, v82
	v_add_f16_e32 v106, v86, v47
	v_mul_f16_e32 v94, 0xbb9c, v98
	v_add_f16_e32 v108, v85, v97
	v_add_f16_e32 v109, v84, v99
	;; [unrolled: 1-line block ×3, first 2 shown]
	v_sub_f16_e32 v114, v86, v47
	v_sub_f16_e32 v116, v85, v97
	;; [unrolled: 1-line block ×4, first 2 shown]
	v_fma_f16 v46, v45, s12, v44
	v_sub_f16_e32 v47, v78, v81
	v_sub_f16_e32 v84, v36, v38
	;; [unrolled: 1-line block ×3, first 2 shown]
	v_fma_f16 v44, v45, s2, v44
	v_fma_f16 v94, v95, s5, v94
	v_add_f16_e32 v84, v85, v84
	v_fma_f16 v44, v47, s3, v44
	v_add_f16_e32 v107, v89, v94
	v_sub_f16_e32 v115, v89, v94
	v_fma_f16 v89, v84, s5, v44
	v_add_f16_e32 v44, v42, v36
	v_fma_f16 v46, v47, s4, v46
	v_fma_f16 v44, v44, -0.5, v34
	v_mul_f16_e32 v91, 0x38b4, v91
	v_fma_f16 v88, v84, s5, v46
	v_fma_f16 v46, v47, s2, v44
	v_sub_f16_e32 v84, v38, v36
	v_sub_f16_e32 v85, v40, v42
	v_fma_f16 v44, v47, s12, v44
	v_fma_f16 v91, v96, s13, v91
	v_add_f16_e32 v84, v85, v84
	v_fma_f16 v44, v45, s3, v44
	v_add_f16_e32 v110, v90, v91
	v_sub_f16_e32 v118, v90, v91
	v_fma_f16 v91, v84, s5, v44
	v_add_f16_e32 v44, v81, v78
	v_fma_f16 v46, v45, s4, v46
	v_fma_f16 v44, v44, -0.5, v75
	v_sub_f16_e32 v45, v36, v42
	v_fma_f16 v90, v84, s5, v46
	v_fma_f16 v46, v45, s2, v44
	v_sub_f16_e32 v47, v38, v40
	v_sub_f16_e32 v84, v76, v78
	;; [unrolled: 1-line block ×3, first 2 shown]
	v_fma_f16 v44, v45, s12, v44
	v_add_f16_e32 v84, v85, v84
	v_fma_f16 v44, v47, s4, v44
	v_mul_f16_e32 v96, 0x34f2, v98
	v_fma_f16 v93, v84, s5, v44
	v_add_f16_e32 v44, v82, v76
	v_fma_f16 v95, v95, s2, v96
	v_fma_f16 v46, v47, s3, v46
	v_fma_f16 v44, v44, -0.5, v75
	v_add_f16_e32 v111, v92, v95
	v_sub_f16_e32 v119, v92, v95
	v_fma_f16 v92, v84, s5, v46
	v_fma_f16 v46, v47, s12, v44
	v_sub_f16_e32 v84, v78, v76
	v_sub_f16_e32 v85, v81, v82
	v_fma_f16 v44, v47, s2, v44
	v_add_f16_e32 v84, v85, v84
	v_fma_f16 v44, v45, s4, v44
	v_fma_f16 v95, v84, s5, v44
	v_add_f16_e32 v44, v41, v39
	v_fma_f16 v46, v45, s3, v46
	v_fma_f16 v44, v44, -0.5, v35
	v_sub_f16_e32 v45, v77, v83
	v_fma_f16 v94, v84, s5, v46
	v_fma_f16 v46, v45, s12, v44
	v_sub_f16_e32 v47, v79, v80
	v_sub_f16_e32 v84, v37, v39
	;; [unrolled: 1-line block ×3, first 2 shown]
	v_fma_f16 v44, v45, s2, v44
	v_fma_f16 v46, v47, s4, v46
	v_add_f16_e32 v84, v85, v84
	v_fma_f16 v44, v47, s3, v44
	v_fma_f16 v46, v84, s5, v46
	;; [unrolled: 1-line block ×3, first 2 shown]
	v_add_f16_e32 v84, v43, v37
	v_fma_f16 v84, v84, -0.5, v35
	v_fma_f16 v85, v47, s2, v84
	v_fma_f16 v47, v47, s12, v84
	;; [unrolled: 1-line block ×3, first 2 shown]
	v_sub_f16_e32 v86, v39, v37
	v_sub_f16_e32 v87, v41, v43
	v_fma_f16 v45, v45, s3, v47
	v_add_f16_e32 v47, v80, v79
	v_add_f16_e32 v86, v87, v86
	v_fma_f16 v47, v47, -0.5, v74
	v_sub_f16_e32 v84, v37, v43
	v_fma_f16 v85, v86, s5, v85
	v_fma_f16 v45, v86, s5, v45
	;; [unrolled: 1-line block ×3, first 2 shown]
	v_sub_f16_e32 v87, v39, v41
	v_sub_f16_e32 v96, v77, v79
	;; [unrolled: 1-line block ×3, first 2 shown]
	v_fma_f16 v47, v84, s12, v47
	v_fma_f16 v86, v87, s3, v86
	v_add_f16_e32 v96, v97, v96
	v_fma_f16 v47, v87, s4, v47
	v_fma_f16 v86, v96, s5, v86
	;; [unrolled: 1-line block ×3, first 2 shown]
	v_add_f16_e32 v96, v83, v77
	v_fma_f16 v96, v96, -0.5, v74
	v_fma_f16 v97, v87, s12, v96
	v_sub_f16_e32 v98, v79, v77
	v_sub_f16_e32 v99, v80, v83
	v_pk_add_f16 v48, v104, v48
	v_fma_f16 v97, v84, s3, v97
	v_add_f16_e32 v98, v99, v98
	v_fma_f16 v87, v87, s2, v96
	v_pk_add_f16 v48, v48, v50
	v_fma_f16 v101, v98, s5, v97
	v_fma_f16 v84, v84, s4, v87
	v_mul_f16_e32 v87, 0xb8b4, v86
	v_mul_f16_e32 v86, 0x3a79, v86
	v_pk_add_f16 v52, v48, v52
	v_pk_add_f16 v48, v105, v49
	v_fma_f16 v84, v98, s5, v84
	v_fma_f16 v96, v46, s13, v87
	v_mul_f16_e32 v87, 0xbb9c, v101
	v_fma_f16 v100, v46, s3, v86
	v_mul_f16_e32 v46, 0x34f2, v101
	v_pk_add_f16 v48, v48, v51
	v_fma_f16 v97, v85, s5, v87
	v_mul_f16_e32 v87, 0xbb9c, v84
	v_fma_f16 v101, v85, s2, v46
	v_mul_f16_e32 v46, 0xb4f2, v84
	v_pk_add_f16 v53, v48, v53
	;; [unrolled: 5-line block ×3, first 2 shown]
	v_pack_b32_f16 v51, v108, v112
	v_pack_b32_f16 v50, v107, v111
	;; [unrolled: 1-line block ×3, first 2 shown]
	v_fma_f16 v99, v44, s15, v87
	v_fma_f16 v103, v44, s3, v45
	s_barrier
	ds_write2_b64 v70, v[48:49], v[50:51] offset1:1
	v_pk_add_f16 v49, v52, v53 neg_lo:[0,1] neg_hi:[0,1]
	v_pack_b32_f16 v51, v115, v119
	v_pack_b32_f16 v50, v114, v118
	;; [unrolled: 1-line block ×3, first 2 shown]
	v_sub_f16_e32 v44, v88, v96
	v_sub_f16_e32 v45, v90, v97
	;; [unrolled: 1-line block ×8, first 2 shown]
	ds_write2_b64 v70, v[48:49], v[50:51] offset0:2 offset1:3
	v_pack_b32_f16 v49, v117, v121
	v_pack_b32_f16 v48, v116, v120
	ds_write_b64 v70, v[48:49] offset:32
	s_and_saveexec_b64 s[2:3], s[0:1]
	s_cbranch_execz .LBB0_17
; %bb.16:
	v_add_f16_e32 v48, v76, v75
	v_add_f16_e32 v49, v77, v74
	v_add_f16_e32 v34, v36, v34
	v_add_f16_e32 v35, v37, v35
	v_add_f16_e32 v48, v78, v48
	v_add_f16_e32 v49, v79, v49
	v_add_f16_e32 v34, v38, v34
	v_add_f16_e32 v35, v39, v35
	v_add_f16_e32 v48, v81, v48
	v_add_f16_e32 v49, v80, v49
	v_add_f16_e32 v34, v40, v34
	v_add_f16_e32 v35, v41, v35
	v_add_f16_e32 v48, v82, v48
	v_add_f16_e32 v49, v83, v49
	v_add_f16_e32 v34, v42, v34
	v_add_f16_e32 v35, v43, v35
	v_sub_f16_e32 v50, v48, v49
	v_sub_f16_e32 v38, v34, v35
	v_add_f16_e32 v36, v95, v102
	v_add_f16_e32 v40, v94, v101
	v_add_f16_e32 v41, v92, v100
	v_add_f16_e32 v37, v49, v48
	v_add_f16_e32 v43, v91, v98
	v_add_f16_e32 v48, v90, v97
	v_add_f16_e32 v49, v88, v96
	v_add_f16_e32 v34, v35, v34
	v_add_f16_e32 v39, v93, v103
	v_add_f16_e32 v42, v89, v99
	v_lshl_add_u32 v51, v69, 2, v68
	v_pack_b32_f16 v34, v34, v37
	v_pack_b32_f16 v37, v43, v36
	;; [unrolled: 1-line block ×4, first 2 shown]
	s_mov_b32 s4, 0x5040100
	ds_write2_b64 v51, v[34:35], v[36:37] offset1:1
	v_pack_b32_f16 v35, v38, v50
	v_perm_b32 v37, v84, v45, s4
	v_perm_b32 v36, v86, v44, s4
	v_pack_b32_f16 v34, v42, v39
	ds_write2_b64 v51, v[34:35], v[36:37] offset0:2 offset1:3
	v_perm_b32 v35, v85, v47, s4
	v_perm_b32 v34, v87, v46, s4
	ds_write_b64 v51, v[34:35] offset:32
.LBB0_17:
	s_or_b64 exec, exec, s[2:3]
	s_waitcnt lgkmcnt(0)
	s_barrier
	ds_read2_b32 v[34:35], v54 offset1:100
	v_add_u32_e32 v36, 0x200, v54
	ds_read2_b32 v[39:40], v36 offset0:72 offset1:172
	v_add_u32_e32 v36, 0x400, v54
	ds_read2_b32 v[41:42], v36 offset0:144 offset1:244
	s_waitcnt lgkmcnt(2)
	v_lshrrev_b32_e32 v70, 16, v35
	v_mul_f16_sdwa v94, v8, v70 dst_sel:DWORD dst_unused:UNUSED_PAD src0_sel:WORD_1 src1_sel:DWORD
	s_waitcnt lgkmcnt(1)
	v_lshrrev_b32_e32 v76, 16, v39
	v_fma_f16 v94, v8, v35, v94
	v_mul_f16_sdwa v35, v8, v35 dst_sel:DWORD dst_unused:UNUSED_PAD src0_sel:WORD_1 src1_sel:DWORD
	v_fma_f16 v8, v8, v70, -v35
	v_mul_f16_sdwa v35, v9, v76 dst_sel:DWORD dst_unused:UNUSED_PAD src0_sel:WORD_1 src1_sel:DWORD
	v_lshrrev_b32_e32 v77, 16, v40
	v_add_u32_e32 v37, 0x800, v54
	v_fma_f16 v35, v9, v39, v35
	v_mul_f16_sdwa v39, v9, v39 dst_sel:DWORD dst_unused:UNUSED_PAD src0_sel:WORD_1 src1_sel:DWORD
	ds_read2_b32 v[48:49], v37 offset0:88 offset1:188
	v_fma_f16 v9, v9, v76, -v39
	v_mul_f16_sdwa v39, v10, v77 dst_sel:DWORD dst_unused:UNUSED_PAD src0_sel:WORD_1 src1_sel:DWORD
	s_waitcnt lgkmcnt(1)
	v_lshrrev_b32_e32 v78, 16, v41
	v_fma_f16 v39, v10, v40, v39
	v_mul_f16_sdwa v40, v10, v40 dst_sel:DWORD dst_unused:UNUSED_PAD src0_sel:WORD_1 src1_sel:DWORD
	v_fma_f16 v10, v10, v77, -v40
	v_mul_f16_sdwa v40, v11, v78 dst_sel:DWORD dst_unused:UNUSED_PAD src0_sel:WORD_1 src1_sel:DWORD
	v_add_u32_e32 v37, 0xc00, v54
	v_lshrrev_b32_e32 v79, 16, v42
	v_fma_f16 v40, v11, v41, v40
	v_mul_f16_sdwa v41, v11, v41 dst_sel:DWORD dst_unused:UNUSED_PAD src0_sel:WORD_1 src1_sel:DWORD
	ds_read2_b32 v[50:51], v37 offset0:32 offset1:132
	v_fma_f16 v11, v11, v78, -v41
	v_mul_f16_sdwa v41, v12, v79 dst_sel:DWORD dst_unused:UNUSED_PAD src0_sel:WORD_1 src1_sel:DWORD
	s_waitcnt lgkmcnt(1)
	v_lshrrev_b32_e32 v80, 16, v48
	v_fma_f16 v41, v12, v42, v41
	v_mul_f16_sdwa v42, v12, v42 dst_sel:DWORD dst_unused:UNUSED_PAD src0_sel:WORD_1 src1_sel:DWORD
	v_fma_f16 v12, v12, v79, -v42
	v_mul_f16_sdwa v42, v13, v80 dst_sel:DWORD dst_unused:UNUSED_PAD src0_sel:WORD_1 src1_sel:DWORD
	v_lshrrev_b32_e32 v81, 16, v49
	v_add_u32_e32 v37, 0xe00, v54
	v_fma_f16 v42, v13, v48, v42
	v_mul_f16_sdwa v48, v13, v48 dst_sel:DWORD dst_unused:UNUSED_PAD src0_sel:WORD_1 src1_sel:DWORD
	ds_read2_b32 v[52:53], v37 offset0:104 offset1:204
	v_fma_f16 v13, v13, v80, -v48
	v_mul_f16_sdwa v48, v14, v81 dst_sel:DWORD dst_unused:UNUSED_PAD src0_sel:WORD_1 src1_sel:DWORD
	s_waitcnt lgkmcnt(1)
	v_lshrrev_b32_e32 v82, 16, v50
	v_fma_f16 v48, v14, v49, v48
	v_mul_f16_sdwa v49, v14, v49 dst_sel:DWORD dst_unused:UNUSED_PAD src0_sel:WORD_1 src1_sel:DWORD
	v_fma_f16 v14, v14, v81, -v49
	v_mul_f16_sdwa v49, v15, v82 dst_sel:DWORD dst_unused:UNUSED_PAD src0_sel:WORD_1 src1_sel:DWORD
	v_lshrrev_b32_e32 v83, 16, v51
	v_add_u32_e32 v38, 0x1200, v54
	v_fma_f16 v49, v15, v50, v49
	v_mul_f16_sdwa v50, v15, v50 dst_sel:DWORD dst_unused:UNUSED_PAD src0_sel:WORD_1 src1_sel:DWORD
	ds_read2_b32 v[68:69], v38 offset0:48 offset1:148
	v_fma_f16 v15, v15, v82, -v50
	v_mul_f16_sdwa v50, v16, v83 dst_sel:DWORD dst_unused:UNUSED_PAD src0_sel:WORD_1 src1_sel:DWORD
	s_waitcnt lgkmcnt(1)
	v_lshrrev_b32_e32 v88, 16, v52
	v_fma_f16 v50, v16, v51, v50
	v_mul_f16_sdwa v51, v16, v51 dst_sel:DWORD dst_unused:UNUSED_PAD src0_sel:WORD_1 src1_sel:DWORD
	v_fma_f16 v16, v16, v83, -v51
	v_mul_f16_sdwa v51, v17, v88 dst_sel:DWORD dst_unused:UNUSED_PAD src0_sel:WORD_1 src1_sel:DWORD
	v_add_u32_e32 v38, 0x1400, v54
	v_lshrrev_b32_e32 v89, 16, v53
	v_fma_f16 v51, v17, v52, v51
	v_mul_f16_sdwa v52, v17, v52 dst_sel:DWORD dst_unused:UNUSED_PAD src0_sel:WORD_1 src1_sel:DWORD
	ds_read2_b32 v[74:75], v38 offset0:120 offset1:220
	v_fma_f16 v17, v17, v88, -v52
	v_mul_f16_sdwa v52, v18, v89 dst_sel:DWORD dst_unused:UNUSED_PAD src0_sel:WORD_1 src1_sel:DWORD
	s_waitcnt lgkmcnt(1)
	v_lshrrev_b32_e32 v90, 16, v68
	v_fma_f16 v52, v18, v53, v52
	v_mul_f16_sdwa v53, v18, v53 dst_sel:DWORD dst_unused:UNUSED_PAD src0_sel:WORD_1 src1_sel:DWORD
	v_fma_f16 v18, v18, v89, -v53
	v_mul_f16_sdwa v53, v19, v90 dst_sel:DWORD dst_unused:UNUSED_PAD src0_sel:WORD_1 src1_sel:DWORD
	v_lshrrev_b32_e32 v91, 16, v69
	v_fma_f16 v53, v19, v68, v53
	v_mul_f16_sdwa v68, v19, v68 dst_sel:DWORD dst_unused:UNUSED_PAD src0_sel:WORD_1 src1_sel:DWORD
	v_fma_f16 v19, v19, v90, -v68
	v_mul_f16_sdwa v68, v28, v91 dst_sel:DWORD dst_unused:UNUSED_PAD src0_sel:WORD_1 src1_sel:DWORD
	s_waitcnt lgkmcnt(0)
	v_lshrrev_b32_e32 v92, 16, v74
	v_fma_f16 v68, v28, v69, v68
	v_mul_f16_sdwa v69, v28, v69 dst_sel:DWORD dst_unused:UNUSED_PAD src0_sel:WORD_1 src1_sel:DWORD
	v_fma_f16 v28, v28, v91, -v69
	v_mul_f16_sdwa v69, v29, v92 dst_sel:DWORD dst_unused:UNUSED_PAD src0_sel:WORD_1 src1_sel:DWORD
	v_mul_f16_sdwa v70, v29, v74 dst_sel:DWORD dst_unused:UNUSED_PAD src0_sel:WORD_1 src1_sel:DWORD
	v_lshrrev_b32_e32 v43, 16, v34
	v_fma_f16 v69, v29, v74, v69
	v_fma_f16 v29, v29, v92, -v70
	v_lshrrev_b32_e32 v93, 16, v75
	v_sub_f16_e32 v49, v34, v49
	v_sub_f16_e32 v15, v43, v15
	;; [unrolled: 1-line block ×8, first 2 shown]
	v_mul_f16_sdwa v70, v30, v93 dst_sel:DWORD dst_unused:UNUSED_PAD src0_sel:WORD_1 src1_sel:DWORD
	v_fma_f16 v34, v34, 2.0, -v49
	v_fma_f16 v43, v43, 2.0, -v15
	;; [unrolled: 1-line block ×8, first 2 shown]
	v_fma_f16 v70, v30, v75, v70
	v_sub_f16_e32 v40, v34, v40
	v_sub_f16_e32 v11, v43, v11
	;; [unrolled: 1-line block ×4, first 2 shown]
	v_mul_f16_sdwa v74, v30, v75 dst_sel:DWORD dst_unused:UNUSED_PAD src0_sel:WORD_1 src1_sel:DWORD
	v_sub_f16_e32 v50, v94, v50
	v_sub_f16_e32 v68, v41, v68
	v_sub_f16_e32 v52, v39, v52
	v_sub_f16_e32 v70, v48, v70
	v_fma_f16 v34, v34, 2.0, -v40
	v_fma_f16 v43, v43, 2.0, -v11
	v_add_f16_e32 v19, v49, v19
	v_sub_f16_e32 v53, v15, v53
	v_fma_f16 v35, v35, 2.0, -v42
	v_fma_f16 v9, v9, 2.0, -v13
	v_add_f16_e32 v29, v51, v29
	v_sub_f16_e32 v69, v17, v69
	v_fma_f16 v30, v30, v93, -v74
	v_fma_f16 v74, v94, 2.0, -v50
	v_fma_f16 v41, v41, 2.0, -v68
	;; [unrolled: 1-line block ×8, first 2 shown]
	v_sub_f16_e32 v35, v34, v35
	v_sub_f16_e32 v75, v43, v9
	s_mov_b32 s2, 0xb9a8
	v_sub_f16_e32 v16, v8, v16
	v_sub_f16_e32 v28, v12, v28
	;; [unrolled: 1-line block ×6, first 2 shown]
	v_fma_f16 v9, v34, 2.0, -v35
	v_fma_f16 v34, v43, 2.0, -v75
	v_fma_f16 v43, v51, s2, v49
	v_fma_f16 v76, v17, s2, v15
	s_movk_i32 s3, 0x39a8
	v_fma_f16 v8, v8, 2.0, -v16
	v_fma_f16 v12, v12, 2.0, -v28
	;; [unrolled: 1-line block ×5, first 2 shown]
	v_add_f16_e32 v28, v50, v28
	v_sub_f16_e32 v68, v16, v68
	v_fma_f16 v39, v39, 2.0, -v48
	v_add_f16_e32 v30, v52, v30
	v_sub_f16_e32 v70, v18, v70
	v_fma_f16 v17, v17, s3, v43
	v_fma_f16 v43, v51, s2, v76
	;; [unrolled: 1-line block ×3, first 2 shown]
	v_sub_f16_e32 v12, v8, v12
	v_fma_f16 v50, v50, 2.0, -v28
	v_fma_f16 v16, v16, 2.0, -v68
	v_sub_f16_e32 v14, v10, v14
	v_fma_f16 v52, v52, 2.0, -v30
	v_fma_f16 v18, v18, 2.0, -v70
	v_fma_f16 v76, v69, s3, v53
	v_fma_f16 v51, v69, s3, v51
	v_sub_f16_e32 v69, v74, v39
	v_fma_f16 v8, v8, 2.0, -v12
	v_fma_f16 v10, v10, 2.0, -v14
	v_fma_f16 v29, v29, s2, v76
	v_fma_f16 v39, v74, 2.0, -v69
	v_fma_f16 v74, v52, s2, v50
	v_fma_f16 v76, v18, s2, v16
	v_sub_f16_e32 v10, v8, v10
	v_fma_f16 v18, v18, s3, v74
	v_fma_f16 v52, v52, s2, v76
	;; [unrolled: 1-line block ×4, first 2 shown]
	v_fma_f16 v49, v49, 2.0, -v17
	v_fma_f16 v15, v15, 2.0, -v43
	v_add_f16_e32 v13, v40, v13
	v_sub_f16_e32 v42, v11, v42
	v_fma_f16 v8, v8, 2.0, -v10
	v_fma_f16 v50, v50, 2.0, -v18
	;; [unrolled: 1-line block ×3, first 2 shown]
	v_add_f16_e32 v14, v41, v14
	v_sub_f16_e32 v48, v12, v48
	v_fma_f16 v70, v70, s3, v74
	v_fma_f16 v74, v30, s2, v76
	v_sub_f16_e32 v76, v9, v39
	s_mov_b32 s4, 0xbb64
	v_fma_f16 v40, v40, 2.0, -v13
	v_fma_f16 v11, v11, 2.0, -v42
	v_fma_f16 v41, v41, 2.0, -v14
	v_fma_f16 v12, v12, 2.0, -v48
	v_sub_f16_e32 v77, v34, v8
	v_fma_f16 v78, v9, 2.0, -v76
	v_fma_f16 v8, v50, s4, v49
	v_fma_f16 v9, v16, s4, v15
	s_movk_i32 s5, 0x361f
	s_mov_b32 s12, 0xb61f
	v_fma_f16 v16, v16, s5, v8
	v_fma_f16 v50, v50, s12, v9
	;; [unrolled: 1-line block ×4, first 2 shown]
	v_fma_f16 v53, v53, 2.0, -v29
	v_fma_f16 v68, v68, 2.0, -v74
	v_fma_f16 v8, v12, s3, v8
	v_fma_f16 v30, v41, s2, v9
	;; [unrolled: 1-line block ×3, first 2 shown]
	v_fma_f16 v19, v19, 2.0, -v51
	v_fma_f16 v28, v28, 2.0, -v70
	;; [unrolled: 1-line block ×4, first 2 shown]
	v_fma_f16 v11, v68, s12, v53
	v_fma_f16 v40, v18, s4, v12
	;; [unrolled: 1-line block ×3, first 2 shown]
	s_movk_i32 s13, 0x3b64
	v_fma_f16 v39, v28, s4, v11
	v_fma_f16 v11, v18, s5, v17
	v_fma_f16 v18, v43, 2.0, -v40
	v_fma_f16 v12, v14, s3, v13
	v_fma_f16 v43, v48, s3, v42
	v_fma_f16 v34, v34, 2.0, -v77
	v_fma_f16 v49, v49, 2.0, -v16
	;; [unrolled: 1-line block ×3, first 2 shown]
	v_fma_f16 v9, v68, s13, v9
	v_fma_f16 v12, v48, s3, v12
	;; [unrolled: 1-line block ×3, first 2 shown]
	v_fma_f16 v19, v19, 2.0, -v9
	v_fma_f16 v28, v53, 2.0, -v39
	v_add_f16_e32 v10, v35, v10
	v_sub_f16_e32 v41, v75, v69
	v_fma_f16 v11, v52, s13, v11
	v_fma_f16 v14, v13, 2.0, -v12
	v_fma_f16 v48, v42, 2.0, -v43
	v_fma_f16 v13, v70, s13, v51
	v_fma_f16 v42, v74, s13, v29
	v_pack_b32_f16 v34, v78, v34
	v_pack_b32_f16 v15, v49, v15
	v_fma_f16 v35, v35, 2.0, -v10
	v_fma_f16 v53, v75, 2.0, -v41
	v_fma_f16 v17, v17, 2.0, -v11
	v_fma_f16 v13, v74, s5, v13
	v_fma_f16 v42, v70, s12, v42
	s_barrier
	ds_write2_b32 v72, v34, v15 offset1:10
	v_pack_b32_f16 v15, v79, v80
	v_pack_b32_f16 v19, v19, v28
	v_fma_f16 v51, v51, 2.0, -v13
	v_fma_f16 v29, v29, 2.0, -v42
	ds_write2_b32 v72, v15, v19 offset0:20 offset1:30
	v_pack_b32_f16 v15, v35, v53
	v_pack_b32_f16 v17, v17, v18
	ds_write2_b32 v72, v15, v17 offset0:40 offset1:50
	v_pack_b32_f16 v14, v14, v48
	v_pack_b32_f16 v15, v51, v29
	;; [unrolled: 3-line block ×6, first 2 shown]
	v_add_u32_e32 v48, 0xa00, v54
	ds_write2_b32 v72, v14, v15 offset0:140 offset1:150
	s_waitcnt lgkmcnt(0)
	s_barrier
	ds_read2_b32 v[14:15], v54 offset1:160
	ds_read2_b32 v[34:35], v36 offset0:64 offset1:224
	ds_read2_b32 v[28:29], v48 offset1:160
	ds_read2_b32 v[18:19], v37 offset0:64 offset1:224
	ds_read2_b32 v[16:17], v38 offset1:160
	s_and_saveexec_b64 s[2:3], s[0:1]
	s_cbranch_execz .LBB0_19
; %bb.18:
	v_add_u32_e32 v42, 0x1000, v54
	v_add_u32_e32 v8, 0x100, v54
	;; [unrolled: 1-line block ×4, first 2 shown]
	ds_read2_b32 v[44:45], v42 offset0:36 offset1:196
	v_add_u32_e32 v42, 0x1500, v54
	ds_read2_b32 v[8:9], v8 offset0:36 offset1:196
	ds_read2_b32 v[10:11], v10 offset0:36 offset1:196
	;; [unrolled: 1-line block ×4, first 2 shown]
	s_waitcnt lgkmcnt(4)
	v_lshrrev_b32_e32 v86, 16, v44
	s_waitcnt lgkmcnt(3)
	v_lshrrev_b32_e32 v30, 16, v8
	v_lshrrev_b32_e32 v39, 16, v9
	s_waitcnt lgkmcnt(2)
	v_lshrrev_b32_e32 v41, 16, v10
	;; [unrolled: 3-line block ×3, first 2 shown]
	v_lshrrev_b32_e32 v42, 16, v13
	v_lshrrev_b32_e32 v84, 16, v45
	s_waitcnt lgkmcnt(0)
	v_lshrrev_b32_e32 v87, 16, v46
	v_lshrrev_b32_e32 v85, 16, v47
.LBB0_19:
	s_or_b64 exec, exec, s[2:3]
	s_waitcnt lgkmcnt(4)
	v_lshrrev_b32_e32 v50, 16, v15
	v_mul_f16_sdwa v75, v20, v50 dst_sel:DWORD dst_unused:UNUSED_PAD src0_sel:WORD_1 src1_sel:DWORD
	s_waitcnt lgkmcnt(3)
	v_lshrrev_b32_e32 v51, 16, v34
	v_fma_f16 v75, v20, v15, v75
	v_mul_f16_sdwa v15, v20, v15 dst_sel:DWORD dst_unused:UNUSED_PAD src0_sel:WORD_1 src1_sel:DWORD
	v_fma_f16 v15, v20, v50, -v15
	v_mul_f16_sdwa v20, v21, v51 dst_sel:DWORD dst_unused:UNUSED_PAD src0_sel:WORD_1 src1_sel:DWORD
	v_lshrrev_b32_e32 v52, 16, v35
	v_fma_f16 v20, v21, v34, v20
	v_mul_f16_sdwa v34, v21, v34 dst_sel:DWORD dst_unused:UNUSED_PAD src0_sel:WORD_1 src1_sel:DWORD
	v_fma_f16 v21, v21, v51, -v34
	v_mul_f16_sdwa v34, v22, v52 dst_sel:DWORD dst_unused:UNUSED_PAD src0_sel:WORD_1 src1_sel:DWORD
	s_waitcnt lgkmcnt(2)
	v_lshrrev_b32_e32 v53, 16, v28
	v_fma_f16 v34, v22, v35, v34
	v_mul_f16_sdwa v35, v22, v35 dst_sel:DWORD dst_unused:UNUSED_PAD src0_sel:WORD_1 src1_sel:DWORD
	v_fma_f16 v22, v22, v52, -v35
	v_mul_f16_sdwa v35, v23, v53 dst_sel:DWORD dst_unused:UNUSED_PAD src0_sel:WORD_1 src1_sel:DWORD
	v_lshrrev_b32_e32 v68, 16, v29
	v_fma_f16 v35, v23, v28, v35
	v_mul_f16_sdwa v28, v23, v28 dst_sel:DWORD dst_unused:UNUSED_PAD src0_sel:WORD_1 src1_sel:DWORD
	v_fma_f16 v23, v23, v53, -v28
	;; [unrolled: 11-line block ×3, first 2 shown]
	v_mul_f16_sdwa v25, v26, v70 dst_sel:DWORD dst_unused:UNUSED_PAD src0_sel:WORD_1 src1_sel:DWORD
	s_waitcnt lgkmcnt(0)
	v_lshrrev_b32_e32 v72, 16, v16
	v_fma_f16 v25, v26, v19, v25
	v_mul_f16_sdwa v19, v26, v19 dst_sel:DWORD dst_unused:UNUSED_PAD src0_sel:WORD_1 src1_sel:DWORD
	v_fma_f16 v19, v26, v70, -v19
	v_mul_f16_sdwa v26, v27, v72 dst_sel:DWORD dst_unused:UNUSED_PAD src0_sel:WORD_1 src1_sel:DWORD
	v_fma_f16 v26, v27, v16, v26
	v_mul_f16_sdwa v16, v27, v16 dst_sel:DWORD dst_unused:UNUSED_PAD src0_sel:WORD_1 src1_sel:DWORD
	v_fma_f16 v16, v27, v72, -v16
	v_add_f16_e32 v51, v35, v29
	v_fma_f16 v51, v51, -0.5, v14
	v_sub_f16_e32 v52, v21, v16
	s_mov_b32 s4, 0xbb9c
	s_movk_i32 s13, 0x3b9c
	v_fma_f16 v53, v52, s4, v51
	v_sub_f16_e32 v68, v23, v18
	s_mov_b32 s5, 0xb8b4
	v_sub_f16_e32 v69, v20, v35
	v_sub_f16_e32 v70, v26, v29
	v_fma_f16 v51, v52, s13, v51
	s_movk_i32 s14, 0x38b4
	v_fma_f16 v53, v68, s5, v53
	v_add_f16_e32 v69, v69, v70
	s_movk_i32 s12, 0x34f2
	v_fma_f16 v51, v68, s14, v51
	v_fma_f16 v53, v69, s12, v53
	;; [unrolled: 1-line block ×3, first 2 shown]
	v_add_f16_e32 v69, v20, v26
	v_lshrrev_b32_e32 v49, 16, v14
	v_add_f16_e32 v50, v14, v20
	v_fma_f16 v14, v69, -0.5, v14
	v_add_f16_e32 v50, v50, v35
	v_fma_f16 v69, v68, s13, v14
	v_sub_f16_e32 v70, v35, v20
	v_sub_f16_e32 v72, v29, v26
	v_fma_f16 v14, v68, s4, v14
	v_add_f16_e32 v68, v23, v18
	v_add_f16_e32 v50, v50, v29
	v_fma_f16 v69, v52, s5, v69
	v_add_f16_e32 v70, v70, v72
	v_fma_f16 v14, v52, s14, v14
	v_fma_f16 v68, v68, -0.5, v49
	v_sub_f16_e32 v20, v20, v26
	v_add_f16_e32 v50, v50, v26
	v_fma_f16 v69, v70, s12, v69
	v_fma_f16 v14, v70, s12, v14
	v_add_f16_e32 v52, v49, v21
	v_fma_f16 v26, v20, s13, v68
	v_sub_f16_e32 v29, v35, v29
	v_sub_f16_e32 v35, v21, v23
	;; [unrolled: 1-line block ×3, first 2 shown]
	v_fma_f16 v68, v20, s4, v68
	v_add_f16_e32 v52, v52, v23
	v_fma_f16 v26, v29, s14, v26
	v_add_f16_e32 v35, v35, v70
	v_fma_f16 v68, v29, s5, v68
	v_lshrrev_b32_e32 v74, 16, v17
	v_add_f16_e32 v52, v52, v18
	v_fma_f16 v26, v35, s12, v26
	v_fma_f16 v35, v35, s12, v68
	v_add_f16_e32 v68, v21, v16
	v_mul_f16_sdwa v27, v73, v74 dst_sel:DWORD dst_unused:UNUSED_PAD src0_sel:WORD_1 src1_sel:DWORD
	v_add_f16_e32 v52, v52, v16
	v_fma_f16 v49, v68, -0.5, v49
	v_sub_f16_e32 v21, v23, v21
	v_sub_f16_e32 v16, v18, v16
	v_fma_f16 v27, v73, v17, v27
	v_mul_f16_sdwa v17, v73, v17 dst_sel:DWORD dst_unused:UNUSED_PAD src0_sel:WORD_1 src1_sel:DWORD
	v_fma_f16 v68, v29, s4, v49
	v_add_f16_e32 v16, v21, v16
	v_fma_f16 v21, v29, s13, v49
	v_fma_f16 v17, v73, v74, -v17
	v_fma_f16 v68, v20, s14, v68
	v_fma_f16 v20, v20, s5, v21
	v_add_f16_e32 v21, v28, v25
	v_fma_f16 v21, v21, -0.5, v75
	v_sub_f16_e32 v23, v22, v17
	v_fma_f16 v18, v16, s12, v68
	v_fma_f16 v29, v23, s4, v21
	v_sub_f16_e32 v49, v24, v19
	v_sub_f16_e32 v68, v34, v28
	;; [unrolled: 1-line block ×3, first 2 shown]
	v_fma_f16 v21, v23, s13, v21
	v_fma_f16 v29, v49, s5, v29
	v_add_f16_e32 v68, v68, v70
	v_fma_f16 v21, v49, s14, v21
	v_fma_f16 v16, v16, s12, v20
	v_add_f16_e32 v20, v75, v34
	;; [unrolled: 3-line block ×3, first 2 shown]
	v_add_f16_e32 v20, v20, v28
	v_fma_f16 v68, v68, -0.5, v75
	v_add_f16_e32 v20, v20, v25
	v_fma_f16 v70, v49, s13, v68
	v_fma_f16 v49, v49, s4, v68
	v_add_f16_e32 v68, v24, v19
	v_add_f16_e32 v20, v20, v27
	v_sub_f16_e32 v72, v28, v34
	v_sub_f16_e32 v73, v25, v27
	v_fma_f16 v68, v68, -0.5, v15
	v_sub_f16_e32 v27, v34, v27
	v_fma_f16 v70, v23, s5, v70
	v_add_f16_e32 v72, v72, v73
	v_fma_f16 v23, v23, s14, v49
	v_fma_f16 v34, v27, s13, v68
	v_sub_f16_e32 v25, v28, v25
	v_fma_f16 v70, v72, s12, v70
	v_fma_f16 v23, v72, s12, v23
	;; [unrolled: 1-line block ×3, first 2 shown]
	v_sub_f16_e32 v34, v22, v24
	v_sub_f16_e32 v72, v17, v19
	v_fma_f16 v68, v27, s4, v68
	v_add_f16_e32 v49, v15, v22
	v_add_f16_e32 v34, v34, v72
	v_fma_f16 v68, v25, s5, v68
	v_add_f16_e32 v49, v49, v24
	v_fma_f16 v28, v34, s12, v28
	v_fma_f16 v34, v34, s12, v68
	v_add_f16_e32 v68, v22, v17
	v_add_f16_e32 v49, v49, v19
	v_fma_f16 v15, v68, -0.5, v15
	v_add_f16_e32 v49, v49, v17
	v_fma_f16 v68, v25, s4, v15
	v_sub_f16_e32 v22, v24, v22
	v_sub_f16_e32 v17, v19, v17
	v_fma_f16 v15, v25, s13, v15
	v_fma_f16 v68, v27, s14, v68
	v_add_f16_e32 v17, v22, v17
	v_fma_f16 v15, v27, s5, v15
	v_fma_f16 v19, v17, s12, v68
	;; [unrolled: 1-line block ×3, first 2 shown]
	v_mul_f16_e32 v22, 0xb8b4, v28
	s_movk_i32 s15, 0x3a79
	v_mul_f16_e32 v28, 0x3a79, v28
	v_fma_f16 v22, v29, s15, v22
	v_mul_f16_e32 v25, 0xbb9c, v19
	v_mul_f16_e32 v68, 0xbb9c, v15
	s_mov_b32 s16, 0xb4f2
	v_fma_f16 v28, v29, s14, v28
	v_mul_f16_e32 v19, 0x34f2, v19
	v_mul_f16_e32 v15, 0xb4f2, v15
	v_add_f16_e32 v17, v50, v20
	v_add_f16_e32 v24, v53, v22
	v_fma_f16 v25, v70, s12, v25
	v_fma_f16 v68, v23, s16, v68
	v_mul_f16_e32 v73, 0xb8b4, v34
	s_mov_b32 s17, 0xba79
	v_add_f16_e32 v75, v52, v49
	v_add_f16_e32 v29, v26, v28
	v_fma_f16 v19, v70, s13, v19
	v_fma_f16 v15, v23, s13, v15
	v_mul_f16_e32 v34, 0xba79, v34
	v_add_f16_e32 v27, v69, v25
	v_add_f16_e32 v72, v14, v68
	v_fma_f16 v73, v21, s17, v73
	v_add_f16_e32 v70, v18, v19
	v_add_f16_e32 v23, v16, v15
	v_fma_f16 v21, v21, s14, v34
	v_sub_f16_e32 v18, v18, v19
	v_pack_b32_f16 v17, v17, v75
	v_pack_b32_f16 v19, v24, v29
	v_add_f16_e32 v74, v51, v73
	v_add_f16_e32 v34, v35, v21
	v_sub_f16_e32 v20, v50, v20
	v_sub_f16_e32 v49, v52, v49
	ds_write2_b32 v54, v17, v19 offset1:160
	v_pack_b32_f16 v17, v27, v70
	v_pack_b32_f16 v19, v72, v23
	v_sub_f16_e32 v22, v53, v22
	v_sub_f16_e32 v25, v69, v25
	;; [unrolled: 1-line block ×7, first 2 shown]
	ds_write2_b32 v36, v17, v19 offset0:64 offset1:224
	v_pack_b32_f16 v17, v74, v34
	v_pack_b32_f16 v19, v20, v49
	ds_write2_b32 v48, v17, v19 offset1:160
	v_pack_b32_f16 v17, v22, v26
	v_pack_b32_f16 v18, v25, v18
	;; [unrolled: 1-line block ×4, first 2 shown]
	ds_write2_b32 v37, v17, v18 offset0:64 offset1:224
	ds_write2_b32 v38, v14, v15 offset1:160
	s_and_saveexec_b64 s[2:3], s[0:1]
	s_cbranch_execz .LBB0_21
; %bb.20:
	v_mul_f16_sdwa v15, v3, v12 dst_sel:DWORD dst_unused:UNUSED_PAD src0_sel:WORD_1 src1_sel:DWORD
	v_mul_f16_sdwa v21, v3, v43 dst_sel:DWORD dst_unused:UNUSED_PAD src0_sel:WORD_1 src1_sel:DWORD
	;; [unrolled: 1-line block ×3, first 2 shown]
	v_fma_f16 v15, v3, v43, -v15
	v_mul_f16_sdwa v17, v7, v46 dst_sel:DWORD dst_unused:UNUSED_PAD src0_sel:WORD_1 src1_sel:DWORD
	v_mul_f16_sdwa v18, v5, v44 dst_sel:DWORD dst_unused:UNUSED_PAD src0_sel:WORD_1 src1_sel:DWORD
	v_fma_f16 v3, v3, v12, v21
	v_mul_f16_sdwa v21, v2, v40 dst_sel:DWORD dst_unused:UNUSED_PAD src0_sel:WORD_1 src1_sel:DWORD
	v_mul_f16_sdwa v22, v4, v42 dst_sel:DWORD dst_unused:UNUSED_PAD src0_sel:WORD_1 src1_sel:DWORD
	;; [unrolled: 1-line block ×4, first 2 shown]
	v_fma_f16 v14, v1, v41, -v14
	v_fma_f16 v17, v7, v87, -v17
	;; [unrolled: 1-line block ×3, first 2 shown]
	v_fma_f16 v21, v2, v11, v21
	v_fma_f16 v22, v4, v13, v22
	;; [unrolled: 1-line block ×4, first 2 shown]
	v_mul_f16_sdwa v11, v2, v11 dst_sel:DWORD dst_unused:UNUSED_PAD src0_sel:WORD_1 src1_sel:DWORD
	v_mul_f16_sdwa v13, v4, v13 dst_sel:DWORD dst_unused:UNUSED_PAD src0_sel:WORD_1 src1_sel:DWORD
	;; [unrolled: 1-line block ×4, first 2 shown]
	v_sub_f16_e32 v23, v21, v22
	v_sub_f16_e32 v26, v24, v25
	v_fma_f16 v2, v2, v40, -v11
	v_mul_f16_sdwa v11, v71, v47 dst_sel:DWORD dst_unused:UNUSED_PAD src0_sel:WORD_1 src1_sel:DWORD
	v_fma_f16 v4, v4, v42, -v13
	v_mul_f16_sdwa v13, v6, v45 dst_sel:DWORD dst_unused:UNUSED_PAD src0_sel:WORD_1 src1_sel:DWORD
	v_sub_f16_e32 v40, v15, v14
	v_sub_f16_e32 v41, v18, v17
	;; [unrolled: 1-line block ×4, first 2 shown]
	v_fma_f16 v1, v1, v10, v20
	v_mul_f16_sdwa v10, v7, v87 dst_sel:DWORD dst_unused:UNUSED_PAD src0_sel:WORD_1 src1_sel:DWORD
	v_fma_f16 v5, v5, v44, v12
	v_add_f16_e32 v23, v26, v23
	v_mul_f16_sdwa v26, v0, v39 dst_sel:DWORD dst_unused:UNUSED_PAD src0_sel:WORD_1 src1_sel:DWORD
	v_fma_f16 v11, v71, v85, -v11
	v_fma_f16 v6, v6, v84, -v13
	v_add_f16_e32 v40, v41, v40
	v_add_f16_e32 v41, v17, v14
	v_add_f16_e32 v16, v19, v16
	v_add_f16_e32 v19, v18, v15
	v_fma_f16 v7, v7, v46, v10
	v_sub_f16_e32 v12, v3, v5
	v_fma_f16 v26, v0, v9, v26
	v_mul_f16_sdwa v9, v0, v9 dst_sel:DWORD dst_unused:UNUSED_PAD src0_sel:WORD_1 src1_sel:DWORD
	v_fma_f16 v41, v41, -0.5, v30
	v_sub_f16_e32 v46, v4, v2
	v_sub_f16_e32 v47, v6, v11
	v_fma_f16 v19, v19, -0.5, v30
	v_sub_f16_e32 v10, v1, v7
	v_add_f16_e32 v27, v25, v22
	v_fma_f16 v0, v0, v39, -v9
	v_add_f16_e32 v9, v6, v4
	v_fma_f16 v42, v12, s13, v41
	v_add_f16_e32 v46, v47, v46
	v_add_f16_e32 v47, v11, v2
	v_fma_f16 v41, v12, s4, v41
	v_fma_f16 v20, v10, s4, v19
	v_fma_f16 v27, v27, -0.5, v26
	v_sub_f16_e32 v28, v2, v11
	v_fma_f16 v9, v9, -0.5, v0
	v_fma_f16 v42, v10, s5, v42
	v_sub_f16_e32 v43, v22, v21
	v_sub_f16_e32 v44, v25, v24
	v_fma_f16 v47, v47, -0.5, v0
	v_fma_f16 v41, v10, s14, v41
	v_fma_f16 v10, v10, s13, v19
	v_add_f16_e32 v0, v2, v0
	v_fma_f16 v20, v12, s5, v20
	v_fma_f16 v29, v28, s13, v27
	v_sub_f16_e32 v13, v4, v6
	v_add_f16_e32 v43, v44, v43
	v_add_f16_e32 v44, v24, v21
	v_fma_f16 v10, v12, s14, v10
	v_fma_f16 v12, v28, s4, v27
	v_add_f16_e32 v0, v4, v0
	v_fma_f16 v29, v13, s14, v29
	v_sub_f16_e32 v34, v2, v4
	v_sub_f16_e32 v35, v11, v6
	v_fma_f16 v44, v44, -0.5, v26
	v_fma_f16 v12, v13, s5, v12
	v_add_f16_e32 v0, v6, v0
	v_sub_f16_e32 v4, v1, v3
	v_sub_f16_e32 v6, v7, v5
	v_fma_f16 v29, v23, s12, v29
	v_add_f16_e32 v34, v35, v34
	v_sub_f16_e32 v35, v21, v24
	v_fma_f16 v42, v40, s12, v42
	v_fma_f16 v45, v13, s4, v44
	;; [unrolled: 1-line block ×5, first 2 shown]
	v_add_f16_e32 v4, v6, v4
	v_add_f16_e32 v6, v5, v3
	v_sub_f16_e32 v23, v3, v1
	v_sub_f16_e32 v27, v5, v7
	v_fma_f16 v36, v35, s4, v9
	v_sub_f16_e32 v37, v22, v25
	v_fma_f16 v45, v28, s14, v45
	v_fma_f16 v41, v28, s5, v41
	;; [unrolled: 1-line block ×3, first 2 shown]
	v_add_f16_e32 v19, v14, v30
	v_add_f16_e32 v0, v11, v0
	v_fma_f16 v6, v6, -0.5, v8
	v_sub_f16_e32 v11, v14, v17
	v_add_f16_e32 v23, v27, v23
	v_add_f16_e32 v27, v7, v1
	;; [unrolled: 1-line block ×3, first 2 shown]
	v_fma_f16 v36, v37, s5, v36
	v_fma_f16 v45, v43, s12, v45
	;; [unrolled: 1-line block ×6, first 2 shown]
	v_add_f16_e32 v19, v15, v19
	v_fma_f16 v14, v11, s13, v6
	v_sub_f16_e32 v15, v15, v18
	v_fma_f16 v27, v27, -0.5, v8
	v_fma_f16 v6, v11, s4, v6
	v_add_f16_e32 v1, v3, v1
	v_add_f16_e32 v3, v21, v26
	v_fma_f16 v36, v34, s12, v36
	v_fma_f16 v48, v35, s5, v48
	;; [unrolled: 1-line block ×4, first 2 shown]
	v_add_f16_e32 v19, v18, v19
	v_fma_f16 v14, v15, s14, v14
	v_fma_f16 v28, v15, s4, v27
	;; [unrolled: 1-line block ×4, first 2 shown]
	v_add_f16_e32 v3, v22, v3
	v_mul_f16_e32 v38, 0xba79, v36
	v_fma_f16 v48, v46, s12, v48
	v_fma_f16 v43, v46, s12, v43
	v_mul_f16_e32 v13, 0x3a79, v9
	v_add_f16_e32 v19, v17, v19
	v_fma_f16 v14, v4, s12, v14
	v_mul_f16_e32 v17, 0xb8b4, v36
	v_fma_f16 v28, v11, s14, v28
	v_fma_f16 v27, v11, s5, v27
	;; [unrolled: 1-line block ×3, first 2 shown]
	v_mul_f16_e32 v6, 0xb8b4, v9
	v_add_f16_e32 v1, v5, v1
	v_add_f16_e32 v3, v25, v3
	v_fma_f16 v38, v29, s14, v38
	v_mul_f16_e32 v49, 0xb4f2, v48
	v_mul_f16_e32 v44, 0x34f2, v43
	v_fma_f16 v10, v16, s12, v10
	v_fma_f16 v13, v12, s14, v13
	v_fma_f16 v17, v29, s17, v17
	v_fma_f16 v28, v23, s12, v28
	v_mul_f16_e32 v29, 0xbb9c, v48
	v_fma_f16 v23, v23, s12, v27
	v_mul_f16_e32 v27, 0xbb9c, v43
	v_fma_f16 v6, v12, s15, v6
	v_add_f16_e32 v1, v7, v1
	v_add_f16_e32 v3, v24, v3
	v_fma_f16 v20, v16, s12, v20
	v_fma_f16 v49, v45, s13, v49
	;; [unrolled: 1-line block ×3, first 2 shown]
	v_sub_f16_e32 v16, v10, v13
	v_sub_f16_e32 v2, v19, v0
	v_fma_f16 v29, v45, s16, v29
	v_fma_f16 v27, v41, s12, v27
	v_sub_f16_e32 v9, v4, v6
	v_sub_f16_e32 v5, v1, v3
	v_add_f16_e32 v10, v10, v13
	v_add_f16_e32 v0, v19, v0
	;; [unrolled: 1-line block ×4, first 2 shown]
	v_sub_f16_e32 v18, v14, v17
	v_add_f16_e32 v8, v42, v49
	v_add_f16_e32 v11, v40, v44
	;; [unrolled: 1-line block ×5, first 2 shown]
	v_pack_b32_f16 v0, v1, v0
	v_pack_b32_f16 v1, v4, v10
	v_add_u32_e32 v3, 0x100, v54
	v_add_f16_e32 v7, v20, v38
	ds_write2_b32 v3, v0, v1 offset0:36 offset1:196
	v_pack_b32_f16 v0, v14, v11
	v_pack_b32_f16 v1, v13, v8
	v_add_u32_e32 v3, 0x600, v54
	v_sub_f16_e32 v46, v40, v44
	v_sub_f16_e32 v34, v23, v27
	ds_write2_b32 v3, v0, v1 offset0:36 offset1:196
	v_pack_b32_f16 v0, v12, v7
	v_pack_b32_f16 v1, v5, v2
	v_add_u32_e32 v2, 0xb00, v54
	v_sub_f16_e32 v39, v20, v38
	v_sub_f16_e32 v50, v42, v49
	;; [unrolled: 1-line block ×3, first 2 shown]
	ds_write2_b32 v2, v0, v1 offset0:36 offset1:196
	v_pack_b32_f16 v0, v9, v16
	v_pack_b32_f16 v1, v34, v46
	v_add_u32_e32 v2, 0x1000, v54
	ds_write2_b32 v2, v0, v1 offset0:36 offset1:196
	v_pack_b32_f16 v0, v30, v50
	v_pack_b32_f16 v1, v18, v39
	v_add_u32_e32 v2, 0x1500, v54
	ds_write2_b32 v2, v0, v1 offset0:36 offset1:196
.LBB0_21:
	s_or_b64 exec, exec, s[2:3]
	s_waitcnt lgkmcnt(0)
	s_barrier
	ds_read2_b32 v[2:3], v54 offset1:160
	s_mov_b32 s12, 0x47ae147b
	s_mov_b32 s13, 0x3f447ae1
	v_mad_u64_u32 v[4:5], s[2:3], s10, v33, 0
	s_waitcnt lgkmcnt(0)
	v_lshrrev_b32_e32 v7, 16, v2
	v_mul_f16_sdwa v0, v67, v7 dst_sel:DWORD dst_unused:UNUSED_PAD src0_sel:WORD_1 src1_sel:DWORD
	v_fma_f16 v0, v67, v2, v0
	v_cvt_f32_f16_e32 v0, v0
	s_movk_i32 s15, 0x1ff
	v_mad_u64_u32 v[5:6], s[2:3], s11, v33, v[5:6]
	v_cvt_f64_f32_e32 v[0:1], v0
	s_movk_i32 s10, 0xffe
	v_mul_f16_sdwa v2, v67, v2 dst_sel:DWORD dst_unused:UNUSED_PAD src0_sel:WORD_1 src1_sel:DWORD
	v_fma_f16 v2, v67, v7, -v2
	v_mul_f64 v[0:1], v[0:1], s[12:13]
	v_cvt_f32_f16_e32 v7, v2
	v_mov_b32_e32 v2, 0x7c00
	s_movk_i32 s11, 0x40f
	s_mov_b32 s14, 0x8000
	v_lshrrev_b32_e32 v11, 16, v3
	v_lshlrev_b64 v[4:5], 2, v[4:5]
	v_mov_b32_e32 v12, s7
	v_and_or_b32 v0, v1, s15, v0
	v_cmp_ne_u32_e32 vcc, 0, v0
	v_lshrrev_b32_e32 v6, 8, v1
	v_bfe_u32 v8, v1, 20, 11
	v_cndmask_b32_e64 v0, 0, 1, vcc
	v_and_or_b32 v0, v6, s10, v0
	v_sub_u32_e32 v9, 0x3f1, v8
	v_or_b32_e32 v6, 0x1000, v0
	v_med3_i32 v9, v9, 0, 13
	v_lshrrev_b32_e32 v10, v9, v6
	v_lshlrev_b32_e32 v9, v9, v10
	v_cmp_ne_u32_e32 vcc, v9, v6
	v_cndmask_b32_e64 v6, 0, 1, vcc
	v_add_u32_e32 v8, 0xfffffc10, v8
	v_or_b32_e32 v6, v10, v6
	v_lshl_or_b32 v9, v8, 12, v0
	v_cmp_gt_i32_e32 vcc, 1, v8
	v_cndmask_b32_e32 v6, v9, v6, vcc
	v_and_b32_e32 v9, 7, v6
	v_cmp_lt_i32_e32 vcc, 5, v9
	v_cmp_eq_u32_e64 s[2:3], 3, v9
	v_lshrrev_b32_e32 v6, 2, v6
	s_or_b64 vcc, s[2:3], vcc
	v_addc_co_u32_e32 v9, vcc, 0, v6, vcc
	v_cvt_f64_f32_e32 v[6:7], v7
	v_cmp_gt_i32_e32 vcc, 31, v8
	v_cndmask_b32_e32 v9, v2, v9, vcc
	v_cmp_ne_u32_e32 vcc, 0, v0
	v_mul_f64 v[6:7], v[6:7], s[12:13]
	v_cndmask_b32_e64 v0, 0, 1, vcc
	v_lshl_or_b32 v0, v0, 9, v2
	v_cmp_eq_u32_e32 vcc, s11, v8
	v_cndmask_b32_e32 v0, v9, v0, vcc
	v_lshrrev_b32_e32 v1, 16, v1
	v_and_or_b32 v10, v1, s14, v0
	s_mul_i32 s4, s9, 0x500
	v_and_or_b32 v0, v7, s15, v6
	v_cmp_ne_u32_e32 vcc, 0, v0
	v_cndmask_b32_e64 v0, 0, 1, vcc
	v_lshrrev_b32_e32 v1, 8, v7
	v_bfe_u32 v6, v7, 20, 11
	v_and_or_b32 v0, v1, s10, v0
	v_sub_u32_e32 v8, 0x3f1, v6
	v_or_b32_e32 v1, 0x1000, v0
	v_med3_i32 v8, v8, 0, 13
	v_lshrrev_b32_e32 v9, v8, v1
	v_lshlrev_b32_e32 v8, v8, v9
	v_cmp_ne_u32_e32 vcc, v8, v1
	v_cndmask_b32_e64 v1, 0, 1, vcc
	v_add_u32_e32 v6, 0xfffffc10, v6
	v_or_b32_e32 v1, v9, v1
	v_lshl_or_b32 v8, v6, 12, v0
	v_cmp_gt_i32_e32 vcc, 1, v6
	v_cndmask_b32_e32 v1, v8, v1, vcc
	v_and_b32_e32 v8, 7, v1
	v_cmp_lt_i32_e32 vcc, 5, v8
	v_cmp_eq_u32_e64 s[2:3], 3, v8
	v_lshrrev_b32_e32 v1, 2, v1
	s_or_b64 vcc, s[2:3], vcc
	v_addc_co_u32_e32 v1, vcc, 0, v1, vcc
	v_cmp_gt_i32_e32 vcc, 31, v6
	v_mad_u64_u32 v[8:9], s[2:3], s8, v65, 0
	v_cndmask_b32_e32 v1, v2, v1, vcc
	v_cmp_ne_u32_e32 vcc, 0, v0
	v_cndmask_b32_e64 v0, 0, 1, vcc
	v_lshl_or_b32 v0, v0, 9, v2
	v_cmp_eq_u32_e32 vcc, s11, v6
	v_cndmask_b32_e32 v6, v1, v0, vcc
	v_mov_b32_e32 v0, v9
	v_mad_u64_u32 v[0:1], s[2:3], s9, v65, v[0:1]
	v_mul_f16_sdwa v1, v66, v11 dst_sel:DWORD dst_unused:UNUSED_PAD src0_sel:WORD_1 src1_sel:DWORD
	v_fma_f16 v1, v66, v3, v1
	v_cvt_f32_f16_e32 v1, v1
	v_mov_b32_e32 v9, v0
	v_lshrrev_b32_e32 v7, 16, v7
	v_and_or_b32 v6, v7, s14, v6
	v_cvt_f64_f32_e32 v[0:1], v1
	v_and_b32_e32 v7, 0xffff, v10
	v_lshl_or_b32 v10, v6, 16, v7
	v_mul_f16_sdwa v3, v66, v3 dst_sel:DWORD dst_unused:UNUSED_PAD src0_sel:WORD_1 src1_sel:DWORD
	v_mul_f64 v[6:7], v[0:1], s[12:13]
	v_add_co_u32_e32 v0, vcc, s6, v4
	v_addc_co_u32_e32 v1, vcc, v12, v5, vcc
	v_lshlrev_b64 v[4:5], 2, v[8:9]
	v_fma_f16 v3, v66, v11, -v3
	v_add_co_u32_e32 v4, vcc, v0, v4
	v_addc_co_u32_e32 v5, vcc, v1, v5, vcc
	v_and_or_b32 v6, v7, s15, v6
	v_cmp_ne_u32_e32 vcc, 0, v6
	v_cndmask_b32_e64 v6, 0, 1, vcc
	v_lshrrev_b32_e32 v8, 8, v7
	v_bfe_u32 v9, v7, 20, 11
	global_store_dword v[4:5], v10, off
	v_and_or_b32 v6, v8, s10, v6
	v_sub_u32_e32 v10, 0x3f1, v9
	v_or_b32_e32 v8, 0x1000, v6
	v_med3_i32 v10, v10, 0, 13
	v_lshrrev_b32_e32 v12, v10, v8
	v_lshlrev_b32_e32 v10, v10, v12
	v_cmp_ne_u32_e32 vcc, v10, v8
	v_cndmask_b32_e64 v8, 0, 1, vcc
	v_add_u32_e32 v10, 0xfffffc10, v9
	v_cvt_f32_f16_e32 v3, v3
	v_or_b32_e32 v8, v12, v8
	v_lshl_or_b32 v9, v10, 12, v6
	v_cmp_gt_i32_e32 vcc, 1, v10
	v_cndmask_b32_e32 v8, v9, v8, vcc
	v_and_b32_e32 v9, 7, v8
	v_cmp_lt_i32_e32 vcc, 5, v9
	v_cmp_eq_u32_e64 s[2:3], 3, v9
	v_lshrrev_b32_e32 v11, 2, v8
	v_cvt_f64_f32_e32 v[8:9], v3
	s_or_b64 vcc, s[2:3], vcc
	v_addc_co_u32_e32 v3, vcc, 0, v11, vcc
	v_mul_f64 v[8:9], v[8:9], s[12:13]
	v_cmp_gt_i32_e32 vcc, 31, v10
	v_cndmask_b32_e32 v3, v2, v3, vcc
	v_cmp_ne_u32_e32 vcc, 0, v6
	v_cndmask_b32_e64 v6, 0, 1, vcc
	v_lshl_or_b32 v6, v6, 9, v2
	v_cmp_eq_u32_e32 vcc, s11, v10
	v_cndmask_b32_e32 v3, v3, v6, vcc
	v_lshrrev_b32_e32 v6, 16, v7
	v_and_or_b32 v3, v6, s14, v3
	v_and_or_b32 v6, v9, s15, v8
	v_cmp_ne_u32_e32 vcc, 0, v6
	v_cndmask_b32_e64 v6, 0, 1, vcc
	v_lshrrev_b32_e32 v7, 8, v9
	v_bfe_u32 v8, v9, 20, 11
	v_and_or_b32 v6, v7, s10, v6
	v_sub_u32_e32 v10, 0x3f1, v8
	v_or_b32_e32 v7, 0x1000, v6
	v_med3_i32 v10, v10, 0, 13
	v_lshrrev_b32_e32 v11, v10, v7
	v_lshlrev_b32_e32 v10, v10, v11
	v_cmp_ne_u32_e32 vcc, v10, v7
	v_cndmask_b32_e64 v7, 0, 1, vcc
	v_add_u32_e32 v8, 0xfffffc10, v8
	v_or_b32_e32 v7, v11, v7
	v_lshl_or_b32 v10, v8, 12, v6
	v_cmp_gt_i32_e32 vcc, 1, v8
	v_cndmask_b32_e32 v7, v10, v7, vcc
	v_and_b32_e32 v10, 7, v7
	v_cmp_lt_i32_e32 vcc, 5, v10
	v_cmp_eq_u32_e64 s[2:3], 3, v10
	v_lshrrev_b32_e32 v7, 2, v7
	s_or_b64 vcc, s[2:3], vcc
	v_addc_co_u32_e32 v7, vcc, 0, v7, vcc
	v_cmp_gt_i32_e32 vcc, 31, v8
	v_cndmask_b32_e32 v10, v2, v7, vcc
	v_cmp_ne_u32_e32 vcc, 0, v6
	v_cndmask_b32_e64 v6, 0, 1, vcc
	v_lshl_or_b32 v11, v6, 9, v2
	v_add_u32_e32 v6, 0x400, v54
	ds_read2_b32 v[6:7], v6 offset0:64 offset1:224
	v_cmp_eq_u32_e32 vcc, s11, v8
	v_cndmask_b32_e32 v8, v10, v11, vcc
	v_lshrrev_b32_e32 v9, 16, v9
	v_and_or_b32 v10, v9, s14, v8
	s_waitcnt lgkmcnt(0)
	v_lshrrev_b32_e32 v11, 16, v6
	v_mul_f16_sdwa v8, v64, v11 dst_sel:DWORD dst_unused:UNUSED_PAD src0_sel:WORD_1 src1_sel:DWORD
	v_fma_f16 v8, v64, v6, v8
	v_cvt_f32_f16_e32 v8, v8
	s_mul_i32 s2, s9, 0xa0
	s_mul_hi_u32 s3, s8, 0xa0
	s_add_i32 s3, s3, s2
	v_cvt_f64_f32_e32 v[8:9], v8
	s_mul_i32 s2, s8, 0xa0
	v_and_b32_e32 v3, 0xffff, v3
	s_lshl_b64 s[6:7], s[2:3], 2
	v_mul_f64 v[8:9], v[8:9], s[12:13]
	v_lshl_or_b32 v10, v10, 16, v3
	v_mov_b32_e32 v3, s7
	v_add_co_u32_e32 v4, vcc, s6, v4
	v_addc_co_u32_e32 v5, vcc, v5, v3, vcc
	global_store_dword v[4:5], v10, off
	v_and_or_b32 v8, v9, s15, v8
	v_cmp_ne_u32_e32 vcc, 0, v8
	v_cndmask_b32_e64 v8, 0, 1, vcc
	v_lshrrev_b32_e32 v10, 8, v9
	v_bfe_u32 v12, v9, 20, 11
	v_and_or_b32 v8, v10, s10, v8
	v_sub_u32_e32 v13, 0x3f1, v12
	v_or_b32_e32 v10, 0x1000, v8
	v_med3_i32 v13, v13, 0, 13
	v_lshrrev_b32_e32 v14, v13, v10
	v_lshlrev_b32_e32 v13, v13, v14
	v_mul_f16_sdwa v6, v64, v6 dst_sel:DWORD dst_unused:UNUSED_PAD src0_sel:WORD_1 src1_sel:DWORD
	v_cmp_ne_u32_e32 vcc, v13, v10
	v_fma_f16 v6, v64, v11, -v6
	v_cndmask_b32_e64 v10, 0, 1, vcc
	v_add_u32_e32 v12, 0xfffffc10, v12
	v_cvt_f32_f16_e32 v6, v6
	v_or_b32_e32 v10, v14, v10
	v_lshl_or_b32 v13, v12, 12, v8
	v_cmp_gt_i32_e32 vcc, 1, v12
	v_cndmask_b32_e32 v10, v13, v10, vcc
	v_and_b32_e32 v13, 7, v10
	v_cmp_lt_i32_e32 vcc, 5, v13
	v_cmp_eq_u32_e64 s[2:3], 3, v13
	v_lshrrev_b32_e32 v13, 2, v10
	v_cvt_f64_f32_e32 v[10:11], v6
	s_or_b64 vcc, s[2:3], vcc
	v_addc_co_u32_e32 v6, vcc, 0, v13, vcc
	v_mul_f64 v[10:11], v[10:11], s[12:13]
	v_cmp_gt_i32_e32 vcc, 31, v12
	v_cndmask_b32_e32 v6, v2, v6, vcc
	v_cmp_ne_u32_e32 vcc, 0, v8
	v_cndmask_b32_e64 v8, 0, 1, vcc
	v_lshl_or_b32 v8, v8, 9, v2
	v_cmp_eq_u32_e32 vcc, s11, v12
	v_cndmask_b32_e32 v6, v6, v8, vcc
	v_lshrrev_b32_e32 v8, 16, v9
	v_and_or_b32 v6, v8, s14, v6
	v_and_or_b32 v8, v11, s15, v10
	v_cmp_ne_u32_e32 vcc, 0, v8
	v_cndmask_b32_e64 v8, 0, 1, vcc
	v_lshrrev_b32_e32 v9, 8, v11
	v_bfe_u32 v10, v11, 20, 11
	v_and_or_b32 v8, v9, s10, v8
	v_sub_u32_e32 v12, 0x3f1, v10
	v_or_b32_e32 v9, 0x1000, v8
	v_med3_i32 v12, v12, 0, 13
	v_lshrrev_b32_e32 v13, v12, v9
	v_lshlrev_b32_e32 v12, v12, v13
	v_cmp_ne_u32_e32 vcc, v12, v9
	v_cndmask_b32_e64 v9, 0, 1, vcc
	v_add_u32_e32 v10, 0xfffffc10, v10
	v_or_b32_e32 v9, v13, v9
	v_lshl_or_b32 v12, v10, 12, v8
	v_cmp_gt_i32_e32 vcc, 1, v10
	v_cndmask_b32_e32 v9, v12, v9, vcc
	v_and_b32_e32 v12, 7, v9
	v_cmp_lt_i32_e32 vcc, 5, v12
	v_cmp_eq_u32_e64 s[2:3], 3, v12
	v_lshrrev_b32_e32 v9, 2, v9
	s_or_b64 vcc, s[2:3], vcc
	v_addc_co_u32_e32 v9, vcc, 0, v9, vcc
	v_cmp_gt_i32_e32 vcc, 31, v10
	v_lshrrev_b32_e32 v13, 16, v7
	v_cndmask_b32_e32 v12, v2, v9, vcc
	v_mul_f16_sdwa v9, v63, v13 dst_sel:DWORD dst_unused:UNUSED_PAD src0_sel:WORD_1 src1_sel:DWORD
	v_fma_f16 v9, v63, v7, v9
	v_cvt_f32_f16_e32 v9, v9
	v_cmp_ne_u32_e32 vcc, 0, v8
	v_cndmask_b32_e64 v8, 0, 1, vcc
	v_lshl_or_b32 v14, v8, 9, v2
	v_cvt_f64_f32_e32 v[8:9], v9
	v_cmp_eq_u32_e32 vcc, s11, v10
	v_cndmask_b32_e32 v10, v12, v14, vcc
	v_lshrrev_b32_e32 v11, 16, v11
	v_mul_f64 v[8:9], v[8:9], s[12:13]
	v_and_or_b32 v10, v11, s14, v10
	v_and_b32_e32 v6, 0xffff, v6
	v_add_co_u32_e32 v4, vcc, s6, v4
	v_lshl_or_b32 v6, v10, 16, v6
	v_addc_co_u32_e32 v5, vcc, v5, v3, vcc
	global_store_dword v[4:5], v6, off
	v_and_or_b32 v6, v9, s15, v8
	v_cmp_ne_u32_e32 vcc, 0, v6
	v_cndmask_b32_e64 v6, 0, 1, vcc
	v_lshrrev_b32_e32 v8, 8, v9
	v_bfe_u32 v10, v9, 20, 11
	v_and_or_b32 v8, v8, s10, v6
	v_sub_u32_e32 v11, 0x3f1, v10
	v_or_b32_e32 v6, 0x1000, v8
	v_med3_i32 v11, v11, 0, 13
	v_lshrrev_b32_e32 v12, v11, v6
	v_lshlrev_b32_e32 v11, v11, v12
	v_mul_f16_sdwa v7, v63, v7 dst_sel:DWORD dst_unused:UNUSED_PAD src0_sel:WORD_1 src1_sel:DWORD
	v_cmp_ne_u32_e32 vcc, v11, v6
	v_fma_f16 v7, v63, v13, -v7
	v_cndmask_b32_e64 v6, 0, 1, vcc
	v_add_u32_e32 v10, 0xfffffc10, v10
	v_cvt_f32_f16_e32 v7, v7
	v_or_b32_e32 v6, v12, v6
	v_lshl_or_b32 v11, v10, 12, v8
	v_cmp_gt_i32_e32 vcc, 1, v10
	v_cndmask_b32_e32 v6, v11, v6, vcc
	v_and_b32_e32 v11, 7, v6
	v_cmp_lt_i32_e32 vcc, 5, v11
	v_cmp_eq_u32_e64 s[2:3], 3, v11
	v_lshrrev_b32_e32 v11, 2, v6
	v_cvt_f64_f32_e32 v[6:7], v7
	s_or_b64 vcc, s[2:3], vcc
	v_addc_co_u32_e32 v11, vcc, 0, v11, vcc
	v_mul_f64 v[6:7], v[6:7], s[12:13]
	v_cmp_gt_i32_e32 vcc, 31, v10
	v_cndmask_b32_e32 v11, v2, v11, vcc
	v_cmp_ne_u32_e32 vcc, 0, v8
	v_cndmask_b32_e64 v8, 0, 1, vcc
	v_lshl_or_b32 v8, v8, 9, v2
	v_cmp_eq_u32_e32 vcc, s11, v10
	v_cndmask_b32_e32 v8, v11, v8, vcc
	v_and_or_b32 v6, v7, s15, v6
	v_lshrrev_b32_e32 v9, 16, v9
	v_cmp_ne_u32_e32 vcc, 0, v6
	v_and_or_b32 v12, v9, s14, v8
	v_cndmask_b32_e64 v6, 0, 1, vcc
	v_lshrrev_b32_e32 v8, 8, v7
	v_bfe_u32 v9, v7, 20, 11
	v_and_or_b32 v6, v8, s10, v6
	v_sub_u32_e32 v10, 0x3f1, v9
	v_or_b32_e32 v8, 0x1000, v6
	v_med3_i32 v10, v10, 0, 13
	v_lshrrev_b32_e32 v11, v10, v8
	v_lshlrev_b32_e32 v10, v10, v11
	v_cmp_ne_u32_e32 vcc, v10, v8
	v_cndmask_b32_e64 v8, 0, 1, vcc
	v_add_u32_e32 v13, 0xfffffc10, v9
	v_or_b32_e32 v8, v11, v8
	v_lshl_or_b32 v9, v13, 12, v6
	v_cmp_gt_i32_e32 vcc, 1, v13
	v_cndmask_b32_e32 v8, v9, v8, vcc
	v_and_b32_e32 v9, 7, v8
	v_lshrrev_b32_e32 v10, 2, v8
	v_add_u32_e32 v8, 0xa00, v54
	v_cmp_lt_i32_e32 vcc, 5, v9
	v_cmp_eq_u32_e64 s[2:3], 3, v9
	ds_read2_b32 v[8:9], v8 offset1:160
	s_or_b64 vcc, s[2:3], vcc
	v_addc_co_u32_e32 v10, vcc, 0, v10, vcc
	v_cmp_gt_i32_e32 vcc, 31, v13
	s_waitcnt lgkmcnt(0)
	v_lshrrev_b32_e32 v15, 16, v8
	v_cndmask_b32_e32 v14, v2, v10, vcc
	v_mul_f16_sdwa v10, v62, v15 dst_sel:DWORD dst_unused:UNUSED_PAD src0_sel:WORD_1 src1_sel:DWORD
	v_fma_f16 v10, v62, v8, v10
	v_cvt_f32_f16_e32 v10, v10
	v_cmp_ne_u32_e32 vcc, 0, v6
	v_cndmask_b32_e64 v6, 0, 1, vcc
	v_lshl_or_b32 v6, v6, 9, v2
	v_cvt_f64_f32_e32 v[10:11], v10
	v_cmp_eq_u32_e32 vcc, s11, v13
	v_cndmask_b32_e32 v6, v14, v6, vcc
	v_lshrrev_b32_e32 v7, 16, v7
	v_and_or_b32 v13, v7, s14, v6
	v_mul_f64 v[6:7], v[10:11], s[12:13]
	v_add_co_u32_e32 v4, vcc, s6, v4
	v_and_b32_e32 v10, 0xffff, v12
	v_addc_co_u32_e32 v5, vcc, v5, v3, vcc
	v_lshl_or_b32 v10, v13, 16, v10
	global_store_dword v[4:5], v10, off
	v_and_or_b32 v6, v7, s15, v6
	v_cmp_ne_u32_e32 vcc, 0, v6
	v_cndmask_b32_e64 v6, 0, 1, vcc
	v_lshrrev_b32_e32 v10, 8, v7
	v_bfe_u32 v11, v7, 20, 11
	v_and_or_b32 v6, v10, s10, v6
	v_sub_u32_e32 v12, 0x3f1, v11
	v_or_b32_e32 v10, 0x1000, v6
	v_med3_i32 v12, v12, 0, 13
	v_lshrrev_b32_e32 v13, v12, v10
	v_lshlrev_b32_e32 v12, v12, v13
	v_mul_f16_sdwa v8, v62, v8 dst_sel:DWORD dst_unused:UNUSED_PAD src0_sel:WORD_1 src1_sel:DWORD
	v_cmp_ne_u32_e32 vcc, v12, v10
	v_fma_f16 v8, v62, v15, -v8
	v_cndmask_b32_e64 v10, 0, 1, vcc
	v_add_u32_e32 v12, 0xfffffc10, v11
	v_cvt_f32_f16_e32 v8, v8
	v_or_b32_e32 v10, v13, v10
	v_lshl_or_b32 v11, v12, 12, v6
	v_cmp_gt_i32_e32 vcc, 1, v12
	v_cndmask_b32_e32 v10, v11, v10, vcc
	v_and_b32_e32 v11, 7, v10
	v_cmp_lt_i32_e32 vcc, 5, v11
	v_cmp_eq_u32_e64 s[2:3], 3, v11
	v_lshrrev_b32_e32 v13, 2, v10
	v_cvt_f64_f32_e32 v[10:11], v8
	s_or_b64 vcc, s[2:3], vcc
	v_addc_co_u32_e32 v8, vcc, 0, v13, vcc
	v_mul_f64 v[10:11], v[10:11], s[12:13]
	v_cmp_gt_i32_e32 vcc, 31, v12
	v_cndmask_b32_e32 v8, v2, v8, vcc
	v_cmp_ne_u32_e32 vcc, 0, v6
	v_cndmask_b32_e64 v6, 0, 1, vcc
	v_lshl_or_b32 v6, v6, 9, v2
	v_cmp_eq_u32_e32 vcc, s11, v12
	v_cndmask_b32_e32 v6, v8, v6, vcc
	v_lshrrev_b32_e32 v7, 16, v7
	v_and_or_b32 v12, v7, s14, v6
	v_and_or_b32 v6, v11, s15, v10
	v_cmp_ne_u32_e32 vcc, 0, v6
	v_cndmask_b32_e64 v6, 0, 1, vcc
	v_lshrrev_b32_e32 v7, 8, v11
	v_bfe_u32 v8, v11, 20, 11
	v_and_or_b32 v6, v7, s10, v6
	v_sub_u32_e32 v10, 0x3f1, v8
	v_or_b32_e32 v7, 0x1000, v6
	v_med3_i32 v10, v10, 0, 13
	v_lshrrev_b32_e32 v13, v10, v7
	v_lshlrev_b32_e32 v10, v10, v13
	v_cmp_ne_u32_e32 vcc, v10, v7
	v_cndmask_b32_e64 v7, 0, 1, vcc
	v_add_u32_e32 v8, 0xfffffc10, v8
	v_or_b32_e32 v7, v13, v7
	v_lshl_or_b32 v10, v8, 12, v6
	v_cmp_gt_i32_e32 vcc, 1, v8
	v_cndmask_b32_e32 v7, v10, v7, vcc
	v_and_b32_e32 v10, 7, v7
	v_cmp_lt_i32_e32 vcc, 5, v10
	v_cmp_eq_u32_e64 s[2:3], 3, v10
	v_lshrrev_b32_e32 v7, 2, v7
	s_or_b64 vcc, s[2:3], vcc
	v_addc_co_u32_e32 v7, vcc, 0, v7, vcc
	v_cmp_gt_i32_e32 vcc, 31, v8
	v_cndmask_b32_e32 v10, v2, v7, vcc
	v_cmp_ne_u32_e32 vcc, 0, v6
	v_lshrrev_b32_e32 v14, 16, v9
	v_cndmask_b32_e64 v13, 0, 1, vcc
	v_cmp_eq_u32_e32 vcc, s11, v8
	v_mul_f16_sdwa v8, v61, v14 dst_sel:DWORD dst_unused:UNUSED_PAD src0_sel:WORD_1 src1_sel:DWORD
	v_mad_u64_u32 v[6:7], s[2:3], s8, v60, 0
	v_lshl_or_b32 v13, v13, 9, v2
	v_fma_f16 v8, v61, v9, v8
	v_cndmask_b32_e32 v13, v10, v13, vcc
	v_cvt_f32_f16_e32 v10, v8
	v_mad_u64_u32 v[7:8], s[2:3], s9, v60, v[7:8]
	v_lshrrev_b32_e32 v8, 16, v11
	v_cvt_f64_f32_e32 v[10:11], v10
	v_lshlrev_b64 v[6:7], 2, v[6:7]
	v_and_or_b32 v8, v8, s14, v13
	v_and_b32_e32 v12, 0xffff, v12
	v_mul_f64 v[10:11], v[10:11], s[12:13]
	v_add_co_u32_e32 v6, vcc, v0, v6
	v_lshl_or_b32 v8, v8, 16, v12
	v_addc_co_u32_e32 v7, vcc, v1, v7, vcc
	global_store_dword v[6:7], v8, off
	v_mul_f16_sdwa v9, v61, v9 dst_sel:DWORD dst_unused:UNUSED_PAD src0_sel:WORD_1 src1_sel:DWORD
	v_and_or_b32 v6, v11, s15, v10
	v_cmp_ne_u32_e32 vcc, 0, v6
	v_cndmask_b32_e64 v6, 0, 1, vcc
	v_lshrrev_b32_e32 v7, 8, v11
	v_and_or_b32 v8, v7, s10, v6
	v_bfe_u32 v7, v11, 20, 11
	v_sub_u32_e32 v10, 0x3f1, v7
	v_or_b32_e32 v6, 0x1000, v8
	v_med3_i32 v10, v10, 0, 13
	v_lshrrev_b32_e32 v12, v10, v6
	v_lshlrev_b32_e32 v10, v10, v12
	v_cmp_ne_u32_e32 vcc, v10, v6
	v_fma_f16 v9, v61, v14, -v9
	v_cndmask_b32_e64 v6, 0, 1, vcc
	v_add_u32_e32 v10, 0xfffffc10, v7
	v_cvt_f32_f16_e32 v9, v9
	v_or_b32_e32 v6, v12, v6
	v_lshl_or_b32 v7, v10, 12, v8
	v_cmp_gt_i32_e32 vcc, 1, v10
	v_cndmask_b32_e32 v6, v7, v6, vcc
	v_and_b32_e32 v7, 7, v6
	v_cmp_lt_i32_e32 vcc, 5, v7
	v_cmp_eq_u32_e64 s[2:3], 3, v7
	v_lshrrev_b32_e32 v12, 2, v6
	v_cvt_f64_f32_e32 v[6:7], v9
	s_or_b64 vcc, s[2:3], vcc
	v_addc_co_u32_e32 v9, vcc, 0, v12, vcc
	v_mul_f64 v[6:7], v[6:7], s[12:13]
	v_cmp_gt_i32_e32 vcc, 31, v10
	v_cndmask_b32_e32 v9, v2, v9, vcc
	v_cmp_ne_u32_e32 vcc, 0, v8
	v_cndmask_b32_e64 v8, 0, 1, vcc
	v_lshl_or_b32 v8, v8, 9, v2
	v_cmp_eq_u32_e32 vcc, s11, v10
	v_cndmask_b32_e32 v8, v9, v8, vcc
	v_and_or_b32 v6, v7, s15, v6
	v_lshrrev_b32_e32 v9, 16, v11
	v_cmp_ne_u32_e32 vcc, 0, v6
	v_and_or_b32 v12, v9, s14, v8
	v_cndmask_b32_e64 v6, 0, 1, vcc
	v_lshrrev_b32_e32 v8, 8, v7
	v_bfe_u32 v9, v7, 20, 11
	v_and_or_b32 v6, v8, s10, v6
	v_sub_u32_e32 v10, 0x3f1, v9
	v_or_b32_e32 v8, 0x1000, v6
	v_med3_i32 v10, v10, 0, 13
	v_lshrrev_b32_e32 v11, v10, v8
	v_lshlrev_b32_e32 v10, v10, v11
	v_cmp_ne_u32_e32 vcc, v10, v8
	v_cndmask_b32_e64 v8, 0, 1, vcc
	v_add_u32_e32 v10, 0xfffffc10, v9
	v_or_b32_e32 v8, v11, v8
	v_lshl_or_b32 v9, v10, 12, v6
	v_cmp_gt_i32_e32 vcc, 1, v10
	v_cndmask_b32_e32 v8, v9, v8, vcc
	v_and_b32_e32 v9, 7, v8
	v_cmp_lt_i32_e32 vcc, 5, v9
	v_cmp_eq_u32_e64 s[2:3], 3, v9
	v_lshrrev_b32_e32 v8, 2, v8
	s_or_b64 vcc, s[2:3], vcc
	v_addc_co_u32_e32 v11, vcc, 0, v8, vcc
	v_add_u32_e32 v8, 0xe00, v54
	ds_read2_b32 v[8:9], v8 offset0:64 offset1:224
	v_cmp_gt_i32_e32 vcc, 31, v10
	v_cndmask_b32_e32 v11, v2, v11, vcc
	v_cmp_ne_u32_e32 vcc, 0, v6
	v_cndmask_b32_e64 v6, 0, 1, vcc
	s_waitcnt lgkmcnt(0)
	v_lshrrev_b32_e32 v13, 16, v8
	v_mul_f16_sdwa v14, v59, v13 dst_sel:DWORD dst_unused:UNUSED_PAD src0_sel:WORD_1 src1_sel:DWORD
	v_fma_f16 v14, v59, v8, v14
	v_cvt_f32_f16_e32 v14, v14
	v_lshl_or_b32 v6, v6, 9, v2
	v_cmp_eq_u32_e32 vcc, s11, v10
	v_cndmask_b32_e32 v6, v11, v6, vcc
	v_cvt_f64_f32_e32 v[10:11], v14
	v_lshrrev_b32_e32 v7, 16, v7
	v_and_or_b32 v14, v7, s14, v6
	v_mov_b32_e32 v15, 0x500
	v_mul_f64 v[6:7], v[10:11], s[12:13]
	v_mad_u64_u32 v[4:5], s[2:3], s8, v15, v[4:5]
	v_and_b32_e32 v10, 0xffff, v12
	v_lshl_or_b32 v10, v14, 16, v10
	v_add_u32_e32 v5, s4, v5
	global_store_dword v[4:5], v10, off
	v_mul_f16_sdwa v8, v59, v8 dst_sel:DWORD dst_unused:UNUSED_PAD src0_sel:WORD_1 src1_sel:DWORD
	v_and_or_b32 v6, v7, s15, v6
	v_cmp_ne_u32_e32 vcc, 0, v6
	v_cndmask_b32_e64 v6, 0, 1, vcc
	v_lshrrev_b32_e32 v10, 8, v7
	v_bfe_u32 v11, v7, 20, 11
	v_and_or_b32 v6, v10, s10, v6
	v_sub_u32_e32 v12, 0x3f1, v11
	v_or_b32_e32 v10, 0x1000, v6
	v_med3_i32 v12, v12, 0, 13
	v_lshrrev_b32_e32 v14, v12, v10
	v_lshlrev_b32_e32 v12, v12, v14
	v_cmp_ne_u32_e32 vcc, v12, v10
	v_fma_f16 v8, v59, v13, -v8
	v_cndmask_b32_e64 v10, 0, 1, vcc
	v_add_u32_e32 v12, 0xfffffc10, v11
	v_cvt_f32_f16_e32 v8, v8
	v_or_b32_e32 v10, v14, v10
	v_lshl_or_b32 v11, v12, 12, v6
	v_cmp_gt_i32_e32 vcc, 1, v12
	v_cndmask_b32_e32 v10, v11, v10, vcc
	v_and_b32_e32 v11, 7, v10
	v_cmp_lt_i32_e32 vcc, 5, v11
	v_cmp_eq_u32_e64 s[2:3], 3, v11
	v_lshrrev_b32_e32 v13, 2, v10
	v_cvt_f64_f32_e32 v[10:11], v8
	s_or_b64 vcc, s[2:3], vcc
	v_addc_co_u32_e32 v8, vcc, 0, v13, vcc
	v_mul_f64 v[10:11], v[10:11], s[12:13]
	v_cmp_gt_i32_e32 vcc, 31, v12
	v_cndmask_b32_e32 v8, v2, v8, vcc
	v_cmp_ne_u32_e32 vcc, 0, v6
	v_cndmask_b32_e64 v6, 0, 1, vcc
	v_lshl_or_b32 v6, v6, 9, v2
	v_cmp_eq_u32_e32 vcc, s11, v12
	v_cndmask_b32_e32 v6, v8, v6, vcc
	v_lshrrev_b32_e32 v7, 16, v7
	v_and_or_b32 v8, v7, s14, v6
	v_and_or_b32 v6, v11, s15, v10
	v_cmp_ne_u32_e32 vcc, 0, v6
	v_cndmask_b32_e64 v6, 0, 1, vcc
	v_lshrrev_b32_e32 v7, 8, v11
	v_bfe_u32 v10, v11, 20, 11
	v_and_or_b32 v6, v7, s10, v6
	v_sub_u32_e32 v12, 0x3f1, v10
	v_or_b32_e32 v7, 0x1000, v6
	v_med3_i32 v12, v12, 0, 13
	v_lshrrev_b32_e32 v13, v12, v7
	v_lshlrev_b32_e32 v12, v12, v13
	v_cmp_ne_u32_e32 vcc, v12, v7
	v_cndmask_b32_e64 v7, 0, 1, vcc
	v_add_u32_e32 v10, 0xfffffc10, v10
	v_or_b32_e32 v7, v13, v7
	v_lshl_or_b32 v12, v10, 12, v6
	v_cmp_gt_i32_e32 vcc, 1, v10
	v_cndmask_b32_e32 v7, v12, v7, vcc
	v_and_b32_e32 v12, 7, v7
	v_cmp_lt_i32_e32 vcc, 5, v12
	v_cmp_eq_u32_e64 s[2:3], 3, v12
	v_lshrrev_b32_e32 v7, 2, v7
	s_or_b64 vcc, s[2:3], vcc
	v_addc_co_u32_e32 v7, vcc, 0, v7, vcc
	v_cmp_gt_i32_e32 vcc, 31, v10
	v_lshrrev_b32_e32 v13, 16, v9
	v_cndmask_b32_e32 v12, v2, v7, vcc
	v_mul_f16_sdwa v7, v58, v13 dst_sel:DWORD dst_unused:UNUSED_PAD src0_sel:WORD_1 src1_sel:DWORD
	v_fma_f16 v7, v58, v9, v7
	v_cvt_f32_f16_e32 v7, v7
	v_cmp_ne_u32_e32 vcc, 0, v6
	v_cndmask_b32_e64 v6, 0, 1, vcc
	v_lshl_or_b32 v14, v6, 9, v2
	v_cvt_f64_f32_e32 v[6:7], v7
	v_cmp_eq_u32_e32 vcc, s11, v10
	v_cndmask_b32_e32 v10, v12, v14, vcc
	v_lshrrev_b32_e32 v11, 16, v11
	v_mul_f64 v[6:7], v[6:7], s[12:13]
	v_add_co_u32_e32 v4, vcc, s6, v4
	v_and_or_b32 v10, v11, s14, v10
	v_and_b32_e32 v8, 0xffff, v8
	v_addc_co_u32_e32 v5, vcc, v5, v3, vcc
	v_lshl_or_b32 v8, v10, 16, v8
	v_and_or_b32 v6, v7, s15, v6
	v_cmp_ne_u32_e32 vcc, 0, v6
	global_store_dword v[4:5], v8, off
	v_cndmask_b32_e64 v6, 0, 1, vcc
	v_lshrrev_b32_e32 v8, 8, v7
	v_bfe_u32 v10, v7, 20, 11
	v_and_or_b32 v6, v8, s10, v6
	v_sub_u32_e32 v11, 0x3f1, v10
	v_or_b32_e32 v8, 0x1000, v6
	v_med3_i32 v11, v11, 0, 13
	v_lshrrev_b32_e32 v12, v11, v8
	v_lshlrev_b32_e32 v11, v11, v12
	v_mul_f16_sdwa v9, v58, v9 dst_sel:DWORD dst_unused:UNUSED_PAD src0_sel:WORD_1 src1_sel:DWORD
	v_cmp_ne_u32_e32 vcc, v11, v8
	v_fma_f16 v9, v58, v13, -v9
	v_cndmask_b32_e64 v8, 0, 1, vcc
	v_add_u32_e32 v10, 0xfffffc10, v10
	v_cvt_f32_f16_e32 v9, v9
	v_or_b32_e32 v8, v12, v8
	v_lshl_or_b32 v11, v10, 12, v6
	v_cmp_gt_i32_e32 vcc, 1, v10
	v_cndmask_b32_e32 v8, v11, v8, vcc
	v_and_b32_e32 v11, 7, v8
	v_cmp_lt_i32_e32 vcc, 5, v11
	v_cmp_eq_u32_e64 s[2:3], 3, v11
	v_lshrrev_b32_e32 v11, 2, v8
	v_cvt_f64_f32_e32 v[8:9], v9
	s_or_b64 vcc, s[2:3], vcc
	v_addc_co_u32_e32 v11, vcc, 0, v11, vcc
	v_mul_f64 v[8:9], v[8:9], s[12:13]
	v_cmp_gt_i32_e32 vcc, 31, v10
	v_cndmask_b32_e32 v11, v2, v11, vcc
	v_cmp_ne_u32_e32 vcc, 0, v6
	v_cndmask_b32_e64 v6, 0, 1, vcc
	v_lshl_or_b32 v6, v6, 9, v2
	v_cmp_eq_u32_e32 vcc, s11, v10
	v_cndmask_b32_e32 v6, v11, v6, vcc
	v_lshrrev_b32_e32 v7, 16, v7
	v_and_or_b32 v12, v7, s14, v6
	v_and_or_b32 v6, v9, s15, v8
	v_cmp_ne_u32_e32 vcc, 0, v6
	v_cndmask_b32_e64 v6, 0, 1, vcc
	v_lshrrev_b32_e32 v7, 8, v9
	v_and_or_b32 v8, v7, s10, v6
	v_bfe_u32 v7, v9, 20, 11
	v_sub_u32_e32 v10, 0x3f1, v7
	v_or_b32_e32 v6, 0x1000, v8
	v_med3_i32 v10, v10, 0, 13
	v_lshrrev_b32_e32 v11, v10, v6
	v_lshlrev_b32_e32 v10, v10, v11
	v_cmp_ne_u32_e32 vcc, v10, v6
	v_cndmask_b32_e64 v6, 0, 1, vcc
	v_add_u32_e32 v13, 0xfffffc10, v7
	v_or_b32_e32 v6, v11, v6
	v_lshl_or_b32 v7, v13, 12, v8
	v_cmp_gt_i32_e32 vcc, 1, v13
	v_cndmask_b32_e32 v6, v7, v6, vcc
	v_and_b32_e32 v7, 7, v6
	v_lshrrev_b32_e32 v10, 2, v6
	v_add_u32_e32 v6, 0x1400, v54
	v_cmp_lt_i32_e32 vcc, 5, v7
	v_cmp_eq_u32_e64 s[2:3], 3, v7
	ds_read2_b32 v[6:7], v6 offset1:160
	s_or_b64 vcc, s[2:3], vcc
	v_addc_co_u32_e32 v10, vcc, 0, v10, vcc
	v_cmp_gt_i32_e32 vcc, 31, v13
	s_waitcnt lgkmcnt(0)
	v_lshrrev_b32_e32 v16, 16, v6
	v_cndmask_b32_e32 v14, v2, v10, vcc
	v_mul_f16_sdwa v10, v57, v16 dst_sel:DWORD dst_unused:UNUSED_PAD src0_sel:WORD_1 src1_sel:DWORD
	v_fma_f16 v10, v57, v6, v10
	v_cvt_f32_f16_e32 v10, v10
	v_cmp_ne_u32_e32 vcc, 0, v8
	v_cndmask_b32_e64 v8, 0, 1, vcc
	v_lshl_or_b32 v8, v8, 9, v2
	v_cvt_f64_f32_e32 v[10:11], v10
	v_cmp_eq_u32_e32 vcc, s11, v13
	v_cndmask_b32_e32 v8, v14, v8, vcc
	v_lshrrev_b32_e32 v9, 16, v9
	v_and_or_b32 v13, v9, s14, v8
	v_mul_f64 v[8:9], v[10:11], s[12:13]
	v_add_co_u32_e32 v4, vcc, s6, v4
	v_and_b32_e32 v10, 0xffff, v12
	v_addc_co_u32_e32 v5, vcc, v5, v3, vcc
	v_lshl_or_b32 v10, v13, 16, v10
	global_store_dword v[4:5], v10, off
	v_and_or_b32 v3, v9, s15, v8
	v_cmp_ne_u32_e32 vcc, 0, v3
	v_cndmask_b32_e64 v3, 0, 1, vcc
	v_lshrrev_b32_e32 v8, 8, v9
	v_bfe_u32 v10, v9, 20, 11
	v_and_or_b32 v3, v8, s10, v3
	v_sub_u32_e32 v11, 0x3f1, v10
	v_or_b32_e32 v8, 0x1000, v3
	v_med3_i32 v11, v11, 0, 13
	v_lshrrev_b32_e32 v12, v11, v8
	v_lshlrev_b32_e32 v11, v11, v12
	v_cmp_ne_u32_e32 vcc, v11, v8
	v_mul_f16_sdwa v6, v57, v6 dst_sel:DWORD dst_unused:UNUSED_PAD src0_sel:WORD_1 src1_sel:DWORD
	v_cndmask_b32_e64 v8, 0, 1, vcc
	v_fma_f16 v6, v57, v16, -v6
	v_or_b32_e32 v8, v12, v8
	v_add_u32_e32 v12, 0xfffffc10, v10
	v_cvt_f32_f16_e32 v6, v6
	v_lshl_or_b32 v10, v12, 12, v3
	v_cmp_gt_i32_e32 vcc, 1, v12
	v_cndmask_b32_e32 v8, v10, v8, vcc
	v_and_b32_e32 v10, 7, v8
	v_cmp_lt_i32_e32 vcc, 5, v10
	v_cmp_eq_u32_e64 s[2:3], 3, v10
	v_cvt_f64_f32_e32 v[10:11], v6
	v_lshrrev_b32_e32 v8, 2, v8
	s_or_b64 vcc, s[2:3], vcc
	v_addc_co_u32_e32 v6, vcc, 0, v8, vcc
	v_mul_f64 v[10:11], v[10:11], s[12:13]
	v_cmp_gt_i32_e32 vcc, 31, v12
	v_cndmask_b32_e32 v6, v2, v6, vcc
	v_cmp_ne_u32_e32 vcc, 0, v3
	v_cndmask_b32_e64 v3, 0, 1, vcc
	v_lshl_or_b32 v3, v3, 9, v2
	v_cmp_eq_u32_e32 vcc, s11, v12
	v_cndmask_b32_e32 v3, v6, v3, vcc
	v_lshrrev_b32_e32 v6, 16, v9
	v_and_or_b32 v6, v6, s14, v3
	v_and_or_b32 v3, v11, s15, v10
	v_cmp_ne_u32_e32 vcc, 0, v3
	v_cndmask_b32_e64 v3, 0, 1, vcc
	v_lshrrev_b32_e32 v8, 8, v11
	v_bfe_u32 v9, v11, 20, 11
	v_and_or_b32 v3, v8, s10, v3
	v_sub_u32_e32 v10, 0x3f1, v9
	v_or_b32_e32 v8, 0x1000, v3
	v_med3_i32 v10, v10, 0, 13
	v_lshrrev_b32_e32 v12, v10, v8
	v_lshlrev_b32_e32 v10, v10, v12
	v_cmp_ne_u32_e32 vcc, v10, v8
	v_cndmask_b32_e64 v8, 0, 1, vcc
	v_add_u32_e32 v10, 0xfffffc10, v9
	v_or_b32_e32 v8, v12, v8
	v_lshl_or_b32 v9, v10, 12, v3
	v_cmp_gt_i32_e32 vcc, 1, v10
	v_cndmask_b32_e32 v8, v9, v8, vcc
	v_and_b32_e32 v9, 7, v8
	v_cmp_lt_i32_e32 vcc, 5, v9
	v_cmp_eq_u32_e64 s[2:3], 3, v9
	v_lshrrev_b32_e32 v8, 2, v8
	s_or_b64 vcc, s[2:3], vcc
	v_addc_co_u32_e32 v8, vcc, 0, v8, vcc
	v_cmp_gt_i32_e32 vcc, 31, v10
	v_cndmask_b32_e32 v12, v2, v8, vcc
	v_mad_u64_u32 v[8:9], s[2:3], s8, v56, 0
	v_cmp_ne_u32_e32 vcc, 0, v3
	v_cndmask_b32_e64 v3, 0, 1, vcc
	v_lshl_or_b32 v3, v3, 9, v2
	v_cmp_eq_u32_e32 vcc, s11, v10
	v_lshrrev_b32_e32 v13, 16, v7
	v_cndmask_b32_e32 v12, v12, v3, vcc
	v_mov_b32_e32 v3, v9
	v_mul_f16_sdwa v9, v55, v13 dst_sel:DWORD dst_unused:UNUSED_PAD src0_sel:WORD_1 src1_sel:DWORD
	v_fma_f16 v9, v55, v7, v9
	v_cvt_f32_f16_e32 v14, v9
	v_mad_u64_u32 v[9:10], s[2:3], s9, v56, v[3:4]
	v_lshrrev_b32_e32 v3, 16, v11
	v_cvt_f64_f32_e32 v[10:11], v14
	v_lshlrev_b64 v[8:9], 2, v[8:9]
	v_and_or_b32 v3, v3, s14, v12
	v_and_b32_e32 v6, 0xffff, v6
	v_mul_f64 v[10:11], v[10:11], s[12:13]
	v_add_co_u32_e32 v0, vcc, v0, v8
	v_lshl_or_b32 v3, v3, 16, v6
	v_addc_co_u32_e32 v1, vcc, v1, v9, vcc
	global_store_dword v[0:1], v3, off
	v_mul_f16_sdwa v7, v55, v7 dst_sel:DWORD dst_unused:UNUSED_PAD src0_sel:WORD_1 src1_sel:DWORD
	v_and_or_b32 v0, v11, s15, v10
	v_cmp_ne_u32_e32 vcc, 0, v0
	v_cndmask_b32_e64 v0, 0, 1, vcc
	v_lshrrev_b32_e32 v1, 8, v11
	v_and_or_b32 v3, v1, s10, v0
	v_bfe_u32 v1, v11, 20, 11
	v_sub_u32_e32 v6, 0x3f1, v1
	v_or_b32_e32 v0, 0x1000, v3
	v_med3_i32 v6, v6, 0, 13
	v_lshrrev_b32_e32 v8, v6, v0
	v_lshlrev_b32_e32 v6, v6, v8
	v_cmp_ne_u32_e32 vcc, v6, v0
	v_fma_f16 v7, v55, v13, -v7
	v_cndmask_b32_e64 v0, 0, 1, vcc
	v_add_u32_e32 v6, 0xfffffc10, v1
	v_cvt_f32_f16_e32 v7, v7
	v_or_b32_e32 v0, v8, v0
	v_lshl_or_b32 v1, v6, 12, v3
	v_cmp_gt_i32_e32 vcc, 1, v6
	v_cndmask_b32_e32 v0, v1, v0, vcc
	v_and_b32_e32 v1, 7, v0
	v_cmp_lt_i32_e32 vcc, 5, v1
	v_cmp_eq_u32_e64 s[2:3], 3, v1
	v_lshrrev_b32_e32 v8, 2, v0
	v_cvt_f64_f32_e32 v[0:1], v7
	s_or_b64 vcc, s[2:3], vcc
	v_addc_co_u32_e32 v7, vcc, 0, v8, vcc
	v_mul_f64 v[0:1], v[0:1], s[12:13]
	v_cmp_gt_i32_e32 vcc, 31, v6
	v_cndmask_b32_e32 v7, v2, v7, vcc
	v_cmp_ne_u32_e32 vcc, 0, v3
	v_cndmask_b32_e64 v3, 0, 1, vcc
	v_lshl_or_b32 v3, v3, 9, v2
	v_cmp_eq_u32_e32 vcc, s11, v6
	v_cndmask_b32_e32 v3, v7, v3, vcc
	v_and_or_b32 v0, v1, s15, v0
	v_lshrrev_b32_e32 v6, 16, v11
	v_cmp_ne_u32_e32 vcc, 0, v0
	v_and_or_b32 v3, v6, s14, v3
	v_cndmask_b32_e64 v0, 0, 1, vcc
	v_lshrrev_b32_e32 v6, 8, v1
	v_bfe_u32 v7, v1, 20, 11
	v_and_or_b32 v0, v6, s10, v0
	v_sub_u32_e32 v8, 0x3f1, v7
	v_or_b32_e32 v6, 0x1000, v0
	v_med3_i32 v8, v8, 0, 13
	v_lshrrev_b32_e32 v9, v8, v6
	v_lshlrev_b32_e32 v8, v8, v9
	v_cmp_ne_u32_e32 vcc, v8, v6
	v_cndmask_b32_e64 v6, 0, 1, vcc
	v_add_u32_e32 v7, 0xfffffc10, v7
	v_or_b32_e32 v6, v9, v6
	v_lshl_or_b32 v8, v7, 12, v0
	v_cmp_gt_i32_e32 vcc, 1, v7
	v_cndmask_b32_e32 v6, v8, v6, vcc
	v_and_b32_e32 v8, 7, v6
	v_cmp_lt_i32_e32 vcc, 5, v8
	v_cmp_eq_u32_e64 s[2:3], 3, v8
	v_lshrrev_b32_e32 v6, 2, v6
	s_or_b64 vcc, s[2:3], vcc
	v_addc_co_u32_e32 v6, vcc, 0, v6, vcc
	v_cmp_gt_i32_e32 vcc, 31, v7
	v_cndmask_b32_e32 v6, v2, v6, vcc
	v_cmp_ne_u32_e32 vcc, 0, v0
	v_cndmask_b32_e64 v0, 0, 1, vcc
	v_lshl_or_b32 v0, v0, 9, v2
	v_cmp_eq_u32_e32 vcc, s11, v7
	v_cndmask_b32_e32 v6, v6, v0, vcc
	v_lshrrev_b32_e32 v7, 16, v1
	v_mad_u64_u32 v[0:1], s[2:3], s8, v15, v[4:5]
	v_and_or_b32 v4, v7, s14, v6
	v_and_b32_e32 v3, 0xffff, v3
	s_movk_i32 s16, 0x1000
	v_lshl_or_b32 v3, v4, 16, v3
	v_add_u32_e32 v1, s4, v1
	global_store_dword v[0:1], v3, off
	s_and_b64 exec, exec, s[0:1]
	s_cbranch_execz .LBB0_23
; %bb.22:
	global_load_dword v5, v[31:32], off offset:400
	v_add_u32_e32 v3, 0x100, v54
	ds_read2_b32 v[3:4], v3 offset0:36 offset1:196
	s_waitcnt lgkmcnt(0)
	v_lshrrev_b32_e32 v6, 16, v3
	s_waitcnt vmcnt(0)
	v_mul_f16_sdwa v7, v6, v5 dst_sel:DWORD dst_unused:UNUSED_PAD src0_sel:DWORD src1_sel:WORD_1
	v_fma_f16 v7, v3, v5, v7
	v_mul_f16_sdwa v3, v3, v5 dst_sel:DWORD dst_unused:UNUSED_PAD src0_sel:DWORD src1_sel:WORD_1
	v_cvt_f32_f16_e32 v7, v7
	v_fma_f16 v3, v5, v6, -v3
	v_cvt_f32_f16_e32 v3, v3
	v_cvt_f64_f32_e32 v[5:6], v7
	v_cvt_f64_f32_e32 v[7:8], v3
	v_mov_b32_e32 v3, 0xffffeb10
	v_mul_f64 v[5:6], v[5:6], s[12:13]
	v_mad_u64_u32 v[0:1], s[0:1], s8, v3, v[0:1]
	v_mul_f64 v[7:8], v[7:8], s[12:13]
	s_mul_i32 s0, s9, 0xffffeb10
	s_sub_i32 s0, s0, s8
	v_add_u32_e32 v1, s0, v1
	v_and_or_b32 v3, v6, s15, v5
	v_cmp_ne_u32_e32 vcc, 0, v3
	v_lshrrev_b32_e32 v5, 8, v6
	v_and_or_b32 v7, v8, s15, v7
	v_bfe_u32 v9, v6, 20, 11
	v_cndmask_b32_e64 v3, 0, 1, vcc
	v_cmp_ne_u32_e32 vcc, 0, v7
	v_lshrrev_b32_e32 v10, 8, v8
	v_bfe_u32 v11, v8, 20, 11
	v_sub_u32_e32 v12, 0x3f1, v9
	v_cndmask_b32_e64 v7, 0, 1, vcc
	v_and_or_b32 v3, v5, s10, v3
	v_sub_u32_e32 v13, 0x3f1, v11
	v_med3_i32 v5, v12, 0, 13
	v_and_or_b32 v7, v10, s10, v7
	v_or_b32_e32 v12, 0x1000, v3
	v_add_u32_e32 v9, 0xfffffc10, v9
	v_med3_i32 v10, v13, 0, 13
	v_cmp_ne_u32_e32 vcc, 0, v3
	v_or_b32_e32 v14, 0x1000, v7
	v_lshrrev_b32_e32 v16, v5, v12
	v_add_u32_e32 v11, 0xfffffc10, v11
	v_lshl_or_b32 v13, v9, 12, v3
	v_cndmask_b32_e64 v3, 0, 1, vcc
	v_cmp_ne_u32_e32 vcc, 0, v7
	v_lshrrev_b32_e32 v17, v10, v14
	v_lshlrev_b32_e32 v5, v5, v16
	v_lshl_or_b32 v15, v11, 12, v7
	v_cndmask_b32_e64 v7, 0, 1, vcc
	v_lshlrev_b32_e32 v10, v10, v17
	v_cmp_ne_u32_e32 vcc, v5, v12
	v_cndmask_b32_e64 v5, 0, 1, vcc
	v_cmp_ne_u32_e32 vcc, v10, v14
	v_cndmask_b32_e64 v10, 0, 1, vcc
	v_or_b32_e32 v5, v16, v5
	v_cmp_gt_i32_e32 vcc, 1, v9
	v_cndmask_b32_e32 v5, v13, v5, vcc
	v_or_b32_e32 v10, v17, v10
	v_cmp_gt_i32_e32 vcc, 1, v11
	v_and_b32_e32 v12, 7, v5
	v_cndmask_b32_e32 v10, v15, v10, vcc
	v_cmp_lt_i32_e32 vcc, 5, v12
	v_cmp_eq_u32_e64 s[0:1], 3, v12
	v_lshrrev_b32_e32 v5, 2, v5
	v_and_b32_e32 v13, 7, v10
	s_or_b64 vcc, s[0:1], vcc
	v_cmp_lt_i32_e64 s[2:3], 5, v13
	v_cmp_eq_u32_e64 s[4:5], 3, v13
	v_addc_co_u32_e32 v5, vcc, 0, v5, vcc
	v_lshrrev_b32_e32 v10, 2, v10
	s_or_b64 vcc, s[4:5], s[2:3]
	v_addc_co_u32_e32 v10, vcc, 0, v10, vcc
	v_cmp_gt_i32_e32 vcc, 31, v9
	v_cndmask_b32_e32 v5, v2, v5, vcc
	v_cmp_gt_i32_e32 vcc, 31, v11
	v_lshl_or_b32 v3, v3, 9, v2
	v_cndmask_b32_e32 v10, v2, v10, vcc
	v_cmp_eq_u32_e32 vcc, s11, v9
	v_lshrrev_b32_e32 v6, 16, v6
	v_lshl_or_b32 v7, v7, 9, v2
	v_cndmask_b32_e32 v3, v5, v3, vcc
	v_cmp_eq_u32_e32 vcc, s11, v11
	v_lshrrev_b32_e32 v8, 16, v8
	v_cndmask_b32_e32 v5, v10, v7, vcc
	v_and_or_b32 v3, v6, s14, v3
	v_and_or_b32 v5, v8, s14, v5
	v_and_b32_e32 v3, 0xffff, v3
	v_lshl_or_b32 v3, v5, 16, v3
	global_store_dword v[0:1], v3, off
	global_load_dword v3, v[31:32], off offset:1040
	v_lshrrev_b32_e32 v5, 16, v4
	v_add_co_u32_e32 v0, vcc, s6, v0
	s_waitcnt vmcnt(0)
	v_mul_f16_sdwa v6, v5, v3 dst_sel:DWORD dst_unused:UNUSED_PAD src0_sel:DWORD src1_sel:WORD_1
	v_fma_f16 v6, v4, v3, v6
	v_mul_f16_sdwa v4, v4, v3 dst_sel:DWORD dst_unused:UNUSED_PAD src0_sel:DWORD src1_sel:WORD_1
	v_cvt_f32_f16_e32 v6, v6
	v_fma_f16 v3, v3, v5, -v4
	v_cvt_f32_f16_e32 v5, v3
	v_cvt_f64_f32_e32 v[3:4], v6
	v_cvt_f64_f32_e32 v[5:6], v5
	v_mul_f64 v[7:8], v[3:4], s[12:13]
	v_mov_b32_e32 v3, s7
	v_mul_f64 v[4:5], v[5:6], s[12:13]
	v_addc_co_u32_e32 v1, vcc, v1, v3, vcc
	v_and_or_b32 v6, v8, s15, v7
	v_cmp_ne_u32_e32 vcc, 0, v6
	v_and_or_b32 v4, v5, s15, v4
	v_lshrrev_b32_e32 v7, 8, v8
	v_bfe_u32 v9, v8, 20, 11
	v_cndmask_b32_e64 v6, 0, 1, vcc
	v_cmp_ne_u32_e32 vcc, 0, v4
	v_lshrrev_b32_e32 v10, 8, v5
	v_bfe_u32 v11, v5, 20, 11
	v_sub_u32_e32 v12, 0x3f1, v9
	v_cndmask_b32_e64 v4, 0, 1, vcc
	v_and_or_b32 v6, v7, s10, v6
	v_sub_u32_e32 v13, 0x3f1, v11
	v_med3_i32 v7, v12, 0, 13
	v_and_or_b32 v4, v10, s10, v4
	v_or_b32_e32 v12, 0x1000, v6
	v_add_u32_e32 v9, 0xfffffc10, v9
	v_med3_i32 v10, v13, 0, 13
	v_cmp_ne_u32_e32 vcc, 0, v6
	v_or_b32_e32 v14, 0x1000, v4
	v_lshrrev_b32_e32 v16, v7, v12
	v_add_u32_e32 v11, 0xfffffc10, v11
	v_lshl_or_b32 v13, v9, 12, v6
	v_cndmask_b32_e64 v6, 0, 1, vcc
	v_cmp_ne_u32_e32 vcc, 0, v4
	v_lshrrev_b32_e32 v17, v10, v14
	v_lshlrev_b32_e32 v7, v7, v16
	v_lshl_or_b32 v15, v11, 12, v4
	v_cndmask_b32_e64 v4, 0, 1, vcc
	v_lshlrev_b32_e32 v10, v10, v17
	v_cmp_ne_u32_e32 vcc, v7, v12
	v_cndmask_b32_e64 v7, 0, 1, vcc
	v_cmp_ne_u32_e32 vcc, v10, v14
	v_cndmask_b32_e64 v10, 0, 1, vcc
	v_or_b32_e32 v7, v16, v7
	v_cmp_gt_i32_e32 vcc, 1, v9
	v_cndmask_b32_e32 v7, v13, v7, vcc
	v_or_b32_e32 v10, v17, v10
	v_cmp_gt_i32_e32 vcc, 1, v11
	v_and_b32_e32 v12, 7, v7
	v_cndmask_b32_e32 v10, v15, v10, vcc
	v_cmp_lt_i32_e32 vcc, 5, v12
	v_cmp_eq_u32_e64 s[0:1], 3, v12
	v_lshrrev_b32_e32 v7, 2, v7
	v_and_b32_e32 v13, 7, v10
	s_or_b64 vcc, s[0:1], vcc
	v_cmp_lt_i32_e64 s[2:3], 5, v13
	v_cmp_eq_u32_e64 s[4:5], 3, v13
	v_addc_co_u32_e32 v7, vcc, 0, v7, vcc
	v_lshrrev_b32_e32 v10, 2, v10
	s_or_b64 vcc, s[4:5], s[2:3]
	v_addc_co_u32_e32 v10, vcc, 0, v10, vcc
	v_cmp_gt_i32_e32 vcc, 31, v9
	v_cndmask_b32_e32 v7, v2, v7, vcc
	v_cmp_gt_i32_e32 vcc, 31, v11
	v_lshl_or_b32 v6, v6, 9, v2
	v_cndmask_b32_e32 v10, v2, v10, vcc
	v_cmp_eq_u32_e32 vcc, s11, v9
	v_lshrrev_b32_e32 v8, 16, v8
	v_lshl_or_b32 v4, v4, 9, v2
	v_cndmask_b32_e32 v6, v7, v6, vcc
	v_cmp_eq_u32_e32 vcc, s11, v11
	v_lshrrev_b32_e32 v5, 16, v5
	v_cndmask_b32_e32 v4, v10, v4, vcc
	v_and_or_b32 v6, v8, s14, v6
	v_and_or_b32 v4, v5, s14, v4
	v_and_b32_e32 v5, 0xffff, v6
	v_lshl_or_b32 v4, v4, 16, v5
	global_store_dword v[0:1], v4, off
	global_load_dword v6, v[31:32], off offset:1680
	v_add_u32_e32 v4, 0x600, v54
	ds_read2_b32 v[4:5], v4 offset0:36 offset1:196
	v_add_co_u32_e32 v0, vcc, s6, v0
	v_addc_co_u32_e32 v1, vcc, v1, v3, vcc
	s_waitcnt lgkmcnt(0)
	v_lshrrev_b32_e32 v7, 16, v4
	s_waitcnt vmcnt(0)
	v_mul_f16_sdwa v8, v7, v6 dst_sel:DWORD dst_unused:UNUSED_PAD src0_sel:DWORD src1_sel:WORD_1
	v_fma_f16 v8, v4, v6, v8
	v_mul_f16_sdwa v4, v4, v6 dst_sel:DWORD dst_unused:UNUSED_PAD src0_sel:DWORD src1_sel:WORD_1
	v_cvt_f32_f16_e32 v8, v8
	v_fma_f16 v4, v6, v7, -v4
	v_cvt_f32_f16_e32 v4, v4
	v_cvt_f64_f32_e32 v[6:7], v8
	v_cvt_f64_f32_e32 v[8:9], v4
	v_mul_f64 v[6:7], v[6:7], s[12:13]
	v_mul_f64 v[8:9], v[8:9], s[12:13]
	v_and_or_b32 v4, v7, s15, v6
	v_cmp_ne_u32_e32 vcc, 0, v4
	v_and_or_b32 v8, v9, s15, v8
	v_lshrrev_b32_e32 v6, 8, v7
	v_bfe_u32 v10, v7, 20, 11
	v_cndmask_b32_e64 v4, 0, 1, vcc
	v_cmp_ne_u32_e32 vcc, 0, v8
	v_lshrrev_b32_e32 v11, 8, v9
	v_bfe_u32 v12, v9, 20, 11
	v_sub_u32_e32 v13, 0x3f1, v10
	v_cndmask_b32_e64 v8, 0, 1, vcc
	v_and_or_b32 v4, v6, s10, v4
	v_sub_u32_e32 v14, 0x3f1, v12
	v_med3_i32 v6, v13, 0, 13
	v_and_or_b32 v8, v11, s10, v8
	v_or_b32_e32 v13, 0x1000, v4
	v_add_u32_e32 v10, 0xfffffc10, v10
	v_med3_i32 v11, v14, 0, 13
	v_cmp_ne_u32_e32 vcc, 0, v4
	v_or_b32_e32 v15, 0x1000, v8
	v_lshrrev_b32_e32 v17, v6, v13
	v_add_u32_e32 v12, 0xfffffc10, v12
	v_lshl_or_b32 v14, v10, 12, v4
	v_cndmask_b32_e64 v4, 0, 1, vcc
	v_cmp_ne_u32_e32 vcc, 0, v8
	v_lshrrev_b32_e32 v18, v11, v15
	v_lshlrev_b32_e32 v6, v6, v17
	v_lshl_or_b32 v16, v12, 12, v8
	v_cndmask_b32_e64 v8, 0, 1, vcc
	v_lshlrev_b32_e32 v11, v11, v18
	v_cmp_ne_u32_e32 vcc, v6, v13
	v_cndmask_b32_e64 v6, 0, 1, vcc
	v_cmp_ne_u32_e32 vcc, v11, v15
	v_cndmask_b32_e64 v11, 0, 1, vcc
	v_or_b32_e32 v6, v17, v6
	v_cmp_gt_i32_e32 vcc, 1, v10
	v_cndmask_b32_e32 v6, v14, v6, vcc
	v_or_b32_e32 v11, v18, v11
	v_cmp_gt_i32_e32 vcc, 1, v12
	v_and_b32_e32 v13, 7, v6
	v_cndmask_b32_e32 v11, v16, v11, vcc
	v_cmp_lt_i32_e32 vcc, 5, v13
	v_cmp_eq_u32_e64 s[0:1], 3, v13
	v_lshrrev_b32_e32 v6, 2, v6
	v_and_b32_e32 v14, 7, v11
	s_or_b64 vcc, s[0:1], vcc
	v_cmp_lt_i32_e64 s[2:3], 5, v14
	v_cmp_eq_u32_e64 s[4:5], 3, v14
	v_addc_co_u32_e32 v6, vcc, 0, v6, vcc
	v_lshrrev_b32_e32 v11, 2, v11
	s_or_b64 vcc, s[4:5], s[2:3]
	v_addc_co_u32_e32 v11, vcc, 0, v11, vcc
	v_cmp_gt_i32_e32 vcc, 31, v10
	v_cndmask_b32_e32 v6, v2, v6, vcc
	v_cmp_gt_i32_e32 vcc, 31, v12
	v_lshl_or_b32 v4, v4, 9, v2
	v_cndmask_b32_e32 v11, v2, v11, vcc
	v_cmp_eq_u32_e32 vcc, s11, v10
	v_lshrrev_b32_e32 v7, 16, v7
	v_lshl_or_b32 v8, v8, 9, v2
	v_cndmask_b32_e32 v4, v6, v4, vcc
	v_cmp_eq_u32_e32 vcc, s11, v12
	v_lshrrev_b32_e32 v9, 16, v9
	v_cndmask_b32_e32 v6, v11, v8, vcc
	v_and_or_b32 v4, v7, s14, v4
	v_and_or_b32 v6, v9, s14, v6
	v_and_b32_e32 v4, 0xffff, v4
	v_lshl_or_b32 v4, v6, 16, v4
	global_store_dword v[0:1], v4, off
	global_load_dword v4, v[31:32], off offset:2320
	v_lshrrev_b32_e32 v6, 16, v5
	v_add_co_u32_e32 v0, vcc, s6, v0
	v_addc_co_u32_e32 v1, vcc, v1, v3, vcc
	s_waitcnt vmcnt(0)
	v_mul_f16_sdwa v7, v6, v4 dst_sel:DWORD dst_unused:UNUSED_PAD src0_sel:DWORD src1_sel:WORD_1
	v_fma_f16 v7, v5, v4, v7
	v_mul_f16_sdwa v5, v5, v4 dst_sel:DWORD dst_unused:UNUSED_PAD src0_sel:DWORD src1_sel:WORD_1
	v_cvt_f32_f16_e32 v7, v7
	v_fma_f16 v4, v4, v6, -v5
	v_cvt_f32_f16_e32 v6, v4
	v_cvt_f64_f32_e32 v[4:5], v7
	v_cvt_f64_f32_e32 v[6:7], v6
	v_mul_f64 v[4:5], v[4:5], s[12:13]
	v_mul_f64 v[6:7], v[6:7], s[12:13]
	v_and_or_b32 v4, v5, s15, v4
	v_cmp_ne_u32_e32 vcc, 0, v4
	v_and_or_b32 v6, v7, s15, v6
	v_lshrrev_b32_e32 v8, 8, v5
	v_bfe_u32 v9, v5, 20, 11
	v_cndmask_b32_e64 v4, 0, 1, vcc
	v_cmp_ne_u32_e32 vcc, 0, v6
	v_lshrrev_b32_e32 v10, 8, v7
	v_bfe_u32 v11, v7, 20, 11
	v_sub_u32_e32 v12, 0x3f1, v9
	v_cndmask_b32_e64 v6, 0, 1, vcc
	v_and_or_b32 v4, v8, s10, v4
	v_sub_u32_e32 v13, 0x3f1, v11
	v_med3_i32 v8, v12, 0, 13
	v_and_or_b32 v6, v10, s10, v6
	v_or_b32_e32 v12, 0x1000, v4
	v_add_u32_e32 v9, 0xfffffc10, v9
	v_med3_i32 v10, v13, 0, 13
	v_cmp_ne_u32_e32 vcc, 0, v4
	v_or_b32_e32 v14, 0x1000, v6
	v_lshrrev_b32_e32 v16, v8, v12
	v_add_u32_e32 v11, 0xfffffc10, v11
	v_lshl_or_b32 v13, v9, 12, v4
	v_cndmask_b32_e64 v4, 0, 1, vcc
	v_cmp_ne_u32_e32 vcc, 0, v6
	v_lshrrev_b32_e32 v17, v10, v14
	v_lshlrev_b32_e32 v8, v8, v16
	v_lshl_or_b32 v15, v11, 12, v6
	v_cndmask_b32_e64 v6, 0, 1, vcc
	v_lshlrev_b32_e32 v10, v10, v17
	v_cmp_ne_u32_e32 vcc, v8, v12
	v_cndmask_b32_e64 v8, 0, 1, vcc
	v_cmp_ne_u32_e32 vcc, v10, v14
	v_cndmask_b32_e64 v10, 0, 1, vcc
	v_or_b32_e32 v8, v16, v8
	v_cmp_gt_i32_e32 vcc, 1, v9
	v_cndmask_b32_e32 v8, v13, v8, vcc
	v_or_b32_e32 v10, v17, v10
	v_cmp_gt_i32_e32 vcc, 1, v11
	v_and_b32_e32 v12, 7, v8
	v_cndmask_b32_e32 v10, v15, v10, vcc
	v_cmp_lt_i32_e32 vcc, 5, v12
	v_cmp_eq_u32_e64 s[0:1], 3, v12
	v_lshrrev_b32_e32 v8, 2, v8
	v_and_b32_e32 v13, 7, v10
	s_or_b64 vcc, s[0:1], vcc
	v_cmp_lt_i32_e64 s[2:3], 5, v13
	v_cmp_eq_u32_e64 s[4:5], 3, v13
	v_addc_co_u32_e32 v8, vcc, 0, v8, vcc
	v_lshrrev_b32_e32 v10, 2, v10
	s_or_b64 vcc, s[4:5], s[2:3]
	v_addc_co_u32_e32 v10, vcc, 0, v10, vcc
	v_cmp_gt_i32_e32 vcc, 31, v9
	v_cndmask_b32_e32 v8, v2, v8, vcc
	v_cmp_gt_i32_e32 vcc, 31, v11
	v_lshl_or_b32 v4, v4, 9, v2
	v_cndmask_b32_e32 v10, v2, v10, vcc
	v_cmp_eq_u32_e32 vcc, s11, v9
	v_lshrrev_b32_e32 v5, 16, v5
	v_lshl_or_b32 v6, v6, 9, v2
	v_cndmask_b32_e32 v4, v8, v4, vcc
	v_cmp_eq_u32_e32 vcc, s11, v11
	v_lshrrev_b32_e32 v7, 16, v7
	v_cndmask_b32_e32 v6, v10, v6, vcc
	v_and_or_b32 v4, v5, s14, v4
	v_and_or_b32 v5, v7, s14, v6
	v_and_b32_e32 v4, 0xffff, v4
	v_lshl_or_b32 v4, v5, 16, v4
	global_store_dword v[0:1], v4, off
	global_load_dword v6, v[31:32], off offset:2960
	v_add_u32_e32 v4, 0xb00, v54
	ds_read2_b32 v[4:5], v4 offset0:36 offset1:196
	v_add_co_u32_e32 v10, vcc, s6, v0
	v_addc_co_u32_e32 v11, vcc, v1, v3, vcc
	s_waitcnt lgkmcnt(0)
	v_lshrrev_b32_e32 v7, 16, v4
	s_waitcnt vmcnt(0)
	v_mul_f16_sdwa v8, v7, v6 dst_sel:DWORD dst_unused:UNUSED_PAD src0_sel:DWORD src1_sel:WORD_1
	v_fma_f16 v8, v4, v6, v8
	v_mul_f16_sdwa v4, v4, v6 dst_sel:DWORD dst_unused:UNUSED_PAD src0_sel:DWORD src1_sel:WORD_1
	v_cvt_f32_f16_e32 v8, v8
	v_fma_f16 v4, v6, v7, -v4
	v_cvt_f32_f16_e32 v4, v4
	v_cvt_f64_f32_e32 v[6:7], v8
	v_cvt_f64_f32_e32 v[8:9], v4
	v_mul_f64 v[6:7], v[6:7], s[12:13]
	v_mul_f64 v[8:9], v[8:9], s[12:13]
	v_and_or_b32 v0, v7, s15, v6
	v_lshrrev_b32_e32 v1, 8, v7
	v_bfe_u32 v4, v7, 20, 11
	v_lshrrev_b32_e32 v6, 16, v7
	v_and_or_b32 v7, v9, s15, v8
	v_cmp_ne_u32_e32 vcc, 0, v0
	v_cndmask_b32_e64 v0, 0, 1, vcc
	v_cmp_ne_u32_e32 vcc, 0, v7
	v_lshrrev_b32_e32 v8, 8, v9
	v_bfe_u32 v12, v9, 20, 11
	v_sub_u32_e32 v13, 0x3f1, v4
	v_cndmask_b32_e64 v7, 0, 1, vcc
	v_and_or_b32 v0, v1, s10, v0
	v_sub_u32_e32 v14, 0x3f1, v12
	v_med3_i32 v1, v13, 0, 13
	v_and_or_b32 v7, v8, s10, v7
	v_or_b32_e32 v13, 0x1000, v0
	v_add_u32_e32 v4, 0xfffffc10, v4
	v_med3_i32 v8, v14, 0, 13
	v_cmp_ne_u32_e32 vcc, 0, v0
	v_or_b32_e32 v15, 0x1000, v7
	v_lshrrev_b32_e32 v17, v1, v13
	v_add_u32_e32 v12, 0xfffffc10, v12
	v_lshl_or_b32 v14, v4, 12, v0
	v_cndmask_b32_e64 v0, 0, 1, vcc
	v_cmp_ne_u32_e32 vcc, 0, v7
	v_lshrrev_b32_e32 v18, v8, v15
	v_lshlrev_b32_e32 v1, v1, v17
	v_lshl_or_b32 v16, v12, 12, v7
	v_cndmask_b32_e64 v7, 0, 1, vcc
	v_lshlrev_b32_e32 v8, v8, v18
	v_cmp_ne_u32_e32 vcc, v1, v13
	v_cndmask_b32_e64 v1, 0, 1, vcc
	v_cmp_ne_u32_e32 vcc, v8, v15
	v_cndmask_b32_e64 v8, 0, 1, vcc
	v_or_b32_e32 v1, v17, v1
	v_cmp_gt_i32_e32 vcc, 1, v4
	v_cndmask_b32_e32 v1, v14, v1, vcc
	v_or_b32_e32 v8, v18, v8
	v_cmp_gt_i32_e32 vcc, 1, v12
	v_and_b32_e32 v13, 7, v1
	v_cndmask_b32_e32 v8, v16, v8, vcc
	v_cmp_lt_i32_e32 vcc, 5, v13
	v_cmp_eq_u32_e64 s[0:1], 3, v13
	v_lshrrev_b32_e32 v1, 2, v1
	v_and_b32_e32 v14, 7, v8
	s_or_b64 vcc, s[0:1], vcc
	v_cmp_lt_i32_e64 s[2:3], 5, v14
	v_cmp_eq_u32_e64 s[4:5], 3, v14
	v_addc_co_u32_e32 v1, vcc, 0, v1, vcc
	v_lshrrev_b32_e32 v8, 2, v8
	s_or_b64 vcc, s[4:5], s[2:3]
	v_addc_co_u32_e32 v8, vcc, 0, v8, vcc
	v_cmp_gt_i32_e32 vcc, 31, v4
	v_cndmask_b32_e32 v1, v2, v1, vcc
	v_cmp_gt_i32_e32 vcc, 31, v12
	v_lshl_or_b32 v0, v0, 9, v2
	v_cndmask_b32_e32 v8, v2, v8, vcc
	v_cmp_eq_u32_e32 vcc, s11, v4
	v_lshl_or_b32 v7, v7, 9, v2
	v_cndmask_b32_e32 v0, v1, v0, vcc
	v_cmp_eq_u32_e32 vcc, s11, v12
	v_lshrrev_b32_e32 v9, 16, v9
	v_cndmask_b32_e32 v1, v8, v7, vcc
	v_and_or_b32 v0, v6, s14, v0
	v_and_or_b32 v1, v9, s14, v1
	v_and_b32_e32 v0, 0xffff, v0
	v_lshl_or_b32 v0, v1, 16, v0
	global_store_dword v[10:11], v0, off
	global_load_dword v0, v[31:32], off offset:3600
	v_lshrrev_b32_e32 v1, 16, v5
	s_waitcnt vmcnt(0)
	v_mul_f16_sdwa v4, v1, v0 dst_sel:DWORD dst_unused:UNUSED_PAD src0_sel:DWORD src1_sel:WORD_1
	v_fma_f16 v4, v5, v0, v4
	v_mul_f16_sdwa v5, v5, v0 dst_sel:DWORD dst_unused:UNUSED_PAD src0_sel:DWORD src1_sel:WORD_1
	v_cvt_f32_f16_e32 v4, v4
	v_fma_f16 v0, v0, v1, -v5
	v_cvt_f32_f16_e32 v5, v0
	v_cvt_f64_f32_e32 v[0:1], v4
	v_cvt_f64_f32_e32 v[4:5], v5
	v_mul_f64 v[6:7], v[0:1], s[12:13]
	v_add_co_u32_e32 v0, vcc, s16, v31
	v_mul_f64 v[4:5], v[4:5], s[12:13]
	v_addc_co_u32_e32 v1, vcc, 0, v32, vcc
	v_add_co_u32_e32 v8, vcc, s6, v10
	v_addc_co_u32_e32 v9, vcc, v11, v3, vcc
	v_and_or_b32 v6, v7, s15, v6
	v_and_or_b32 v4, v5, s15, v4
	v_cmp_ne_u32_e32 vcc, 0, v6
	v_lshrrev_b32_e32 v10, 8, v7
	v_bfe_u32 v11, v7, 20, 11
	v_cndmask_b32_e64 v6, 0, 1, vcc
	v_cmp_ne_u32_e32 vcc, 0, v4
	v_lshrrev_b32_e32 v12, 8, v5
	v_bfe_u32 v13, v5, 20, 11
	v_sub_u32_e32 v14, 0x3f1, v11
	v_cndmask_b32_e64 v4, 0, 1, vcc
	v_and_or_b32 v6, v10, s10, v6
	v_sub_u32_e32 v15, 0x3f1, v13
	v_med3_i32 v10, v14, 0, 13
	v_and_or_b32 v4, v12, s10, v4
	v_or_b32_e32 v14, 0x1000, v6
	v_add_u32_e32 v11, 0xfffffc10, v11
	v_med3_i32 v12, v15, 0, 13
	v_cmp_ne_u32_e32 vcc, 0, v6
	v_or_b32_e32 v16, 0x1000, v4
	v_lshrrev_b32_e32 v18, v10, v14
	v_add_u32_e32 v13, 0xfffffc10, v13
	v_lshl_or_b32 v15, v11, 12, v6
	v_cndmask_b32_e64 v6, 0, 1, vcc
	v_cmp_ne_u32_e32 vcc, 0, v4
	v_lshrrev_b32_e32 v19, v12, v16
	v_lshlrev_b32_e32 v10, v10, v18
	v_lshl_or_b32 v17, v13, 12, v4
	v_cndmask_b32_e64 v4, 0, 1, vcc
	v_lshlrev_b32_e32 v12, v12, v19
	v_cmp_ne_u32_e32 vcc, v10, v14
	v_cndmask_b32_e64 v10, 0, 1, vcc
	v_cmp_ne_u32_e32 vcc, v12, v16
	v_cndmask_b32_e64 v12, 0, 1, vcc
	v_or_b32_e32 v10, v18, v10
	v_cmp_gt_i32_e32 vcc, 1, v11
	v_cndmask_b32_e32 v10, v15, v10, vcc
	v_or_b32_e32 v12, v19, v12
	v_cmp_gt_i32_e32 vcc, 1, v13
	v_and_b32_e32 v14, 7, v10
	v_cndmask_b32_e32 v12, v17, v12, vcc
	v_cmp_lt_i32_e32 vcc, 5, v14
	v_cmp_eq_u32_e64 s[0:1], 3, v14
	v_lshrrev_b32_e32 v10, 2, v10
	v_and_b32_e32 v15, 7, v12
	s_or_b64 vcc, s[0:1], vcc
	v_cmp_lt_i32_e64 s[2:3], 5, v15
	v_cmp_eq_u32_e64 s[4:5], 3, v15
	v_addc_co_u32_e32 v10, vcc, 0, v10, vcc
	v_lshrrev_b32_e32 v12, 2, v12
	s_or_b64 vcc, s[4:5], s[2:3]
	v_addc_co_u32_e32 v12, vcc, 0, v12, vcc
	v_cmp_gt_i32_e32 vcc, 31, v11
	v_cndmask_b32_e32 v10, v2, v10, vcc
	v_cmp_gt_i32_e32 vcc, 31, v13
	v_lshl_or_b32 v6, v6, 9, v2
	v_cndmask_b32_e32 v12, v2, v12, vcc
	v_cmp_eq_u32_e32 vcc, s11, v11
	v_lshrrev_b32_e32 v7, 16, v7
	v_lshl_or_b32 v4, v4, 9, v2
	v_cndmask_b32_e32 v6, v10, v6, vcc
	v_cmp_eq_u32_e32 vcc, s11, v13
	v_lshrrev_b32_e32 v5, 16, v5
	v_cndmask_b32_e32 v4, v12, v4, vcc
	v_and_or_b32 v6, v7, s14, v6
	v_and_or_b32 v4, v5, s14, v4
	v_and_b32_e32 v5, 0xffff, v6
	v_lshl_or_b32 v4, v4, 16, v5
	global_store_dword v[8:9], v4, off
	global_load_dword v6, v[0:1], off offset:144
	v_add_u32_e32 v4, 0x1000, v54
	ds_read2_b32 v[4:5], v4 offset0:36 offset1:196
	v_add_co_u32_e32 v8, vcc, s6, v8
	v_addc_co_u32_e32 v9, vcc, v9, v3, vcc
	s_waitcnt lgkmcnt(0)
	v_lshrrev_b32_e32 v7, 16, v4
	s_waitcnt vmcnt(0)
	v_mul_f16_sdwa v10, v7, v6 dst_sel:DWORD dst_unused:UNUSED_PAD src0_sel:DWORD src1_sel:WORD_1
	v_fma_f16 v10, v4, v6, v10
	v_mul_f16_sdwa v4, v4, v6 dst_sel:DWORD dst_unused:UNUSED_PAD src0_sel:DWORD src1_sel:WORD_1
	v_cvt_f32_f16_e32 v10, v10
	v_fma_f16 v4, v6, v7, -v4
	v_cvt_f32_f16_e32 v4, v4
	v_cvt_f64_f32_e32 v[6:7], v10
	v_cvt_f64_f32_e32 v[10:11], v4
	v_mul_f64 v[6:7], v[6:7], s[12:13]
	v_mul_f64 v[10:11], v[10:11], s[12:13]
	v_and_or_b32 v4, v7, s15, v6
	v_cmp_ne_u32_e32 vcc, 0, v4
	v_and_or_b32 v10, v11, s15, v10
	v_lshrrev_b32_e32 v6, 8, v7
	v_bfe_u32 v12, v7, 20, 11
	v_cndmask_b32_e64 v4, 0, 1, vcc
	v_cmp_ne_u32_e32 vcc, 0, v10
	v_lshrrev_b32_e32 v13, 8, v11
	v_bfe_u32 v14, v11, 20, 11
	v_sub_u32_e32 v15, 0x3f1, v12
	v_cndmask_b32_e64 v10, 0, 1, vcc
	v_and_or_b32 v4, v6, s10, v4
	v_sub_u32_e32 v16, 0x3f1, v14
	v_med3_i32 v6, v15, 0, 13
	v_and_or_b32 v10, v13, s10, v10
	v_or_b32_e32 v15, 0x1000, v4
	v_add_u32_e32 v12, 0xfffffc10, v12
	v_med3_i32 v13, v16, 0, 13
	v_cmp_ne_u32_e32 vcc, 0, v4
	v_or_b32_e32 v17, 0x1000, v10
	v_lshrrev_b32_e32 v19, v6, v15
	v_add_u32_e32 v14, 0xfffffc10, v14
	v_lshl_or_b32 v16, v12, 12, v4
	v_cndmask_b32_e64 v4, 0, 1, vcc
	v_cmp_ne_u32_e32 vcc, 0, v10
	v_lshrrev_b32_e32 v20, v13, v17
	v_lshlrev_b32_e32 v6, v6, v19
	v_lshl_or_b32 v18, v14, 12, v10
	v_cndmask_b32_e64 v10, 0, 1, vcc
	v_lshlrev_b32_e32 v13, v13, v20
	v_cmp_ne_u32_e32 vcc, v6, v15
	v_cndmask_b32_e64 v6, 0, 1, vcc
	v_cmp_ne_u32_e32 vcc, v13, v17
	v_cndmask_b32_e64 v13, 0, 1, vcc
	v_or_b32_e32 v6, v19, v6
	v_cmp_gt_i32_e32 vcc, 1, v12
	v_cndmask_b32_e32 v6, v16, v6, vcc
	v_or_b32_e32 v13, v20, v13
	v_cmp_gt_i32_e32 vcc, 1, v14
	v_and_b32_e32 v15, 7, v6
	v_cndmask_b32_e32 v13, v18, v13, vcc
	v_cmp_lt_i32_e32 vcc, 5, v15
	v_cmp_eq_u32_e64 s[0:1], 3, v15
	v_lshrrev_b32_e32 v6, 2, v6
	v_and_b32_e32 v16, 7, v13
	s_or_b64 vcc, s[0:1], vcc
	v_cmp_lt_i32_e64 s[2:3], 5, v16
	v_cmp_eq_u32_e64 s[4:5], 3, v16
	v_addc_co_u32_e32 v6, vcc, 0, v6, vcc
	v_lshrrev_b32_e32 v13, 2, v13
	s_or_b64 vcc, s[4:5], s[2:3]
	v_addc_co_u32_e32 v13, vcc, 0, v13, vcc
	v_cmp_gt_i32_e32 vcc, 31, v12
	v_cndmask_b32_e32 v6, v2, v6, vcc
	v_cmp_gt_i32_e32 vcc, 31, v14
	v_lshl_or_b32 v4, v4, 9, v2
	v_cndmask_b32_e32 v13, v2, v13, vcc
	v_cmp_eq_u32_e32 vcc, s11, v12
	v_lshrrev_b32_e32 v7, 16, v7
	v_lshl_or_b32 v10, v10, 9, v2
	v_cndmask_b32_e32 v4, v6, v4, vcc
	v_cmp_eq_u32_e32 vcc, s11, v14
	v_lshrrev_b32_e32 v11, 16, v11
	v_cndmask_b32_e32 v6, v13, v10, vcc
	v_and_or_b32 v4, v7, s14, v4
	v_and_or_b32 v6, v11, s14, v6
	v_and_b32_e32 v4, 0xffff, v4
	v_lshl_or_b32 v4, v6, 16, v4
	global_store_dword v[8:9], v4, off
	global_load_dword v4, v[0:1], off offset:784
	v_lshrrev_b32_e32 v6, 16, v5
	v_add_co_u32_e32 v8, vcc, s6, v8
	v_addc_co_u32_e32 v9, vcc, v9, v3, vcc
	s_waitcnt vmcnt(0)
	v_mul_f16_sdwa v7, v6, v4 dst_sel:DWORD dst_unused:UNUSED_PAD src0_sel:DWORD src1_sel:WORD_1
	v_fma_f16 v7, v5, v4, v7
	v_mul_f16_sdwa v5, v5, v4 dst_sel:DWORD dst_unused:UNUSED_PAD src0_sel:DWORD src1_sel:WORD_1
	v_cvt_f32_f16_e32 v7, v7
	v_fma_f16 v4, v4, v6, -v5
	v_cvt_f32_f16_e32 v6, v4
	v_cvt_f64_f32_e32 v[4:5], v7
	v_cvt_f64_f32_e32 v[6:7], v6
	v_mul_f64 v[4:5], v[4:5], s[12:13]
	v_mul_f64 v[6:7], v[6:7], s[12:13]
	v_and_or_b32 v4, v5, s15, v4
	v_cmp_ne_u32_e32 vcc, 0, v4
	v_and_or_b32 v6, v7, s15, v6
	v_lshrrev_b32_e32 v10, 8, v5
	v_bfe_u32 v11, v5, 20, 11
	v_cndmask_b32_e64 v4, 0, 1, vcc
	v_cmp_ne_u32_e32 vcc, 0, v6
	v_lshrrev_b32_e32 v12, 8, v7
	v_bfe_u32 v13, v7, 20, 11
	v_sub_u32_e32 v14, 0x3f1, v11
	v_cndmask_b32_e64 v6, 0, 1, vcc
	v_and_or_b32 v4, v10, s10, v4
	v_sub_u32_e32 v15, 0x3f1, v13
	v_med3_i32 v10, v14, 0, 13
	v_and_or_b32 v6, v12, s10, v6
	v_or_b32_e32 v14, 0x1000, v4
	v_add_u32_e32 v11, 0xfffffc10, v11
	v_med3_i32 v12, v15, 0, 13
	v_cmp_ne_u32_e32 vcc, 0, v4
	v_or_b32_e32 v16, 0x1000, v6
	v_lshrrev_b32_e32 v18, v10, v14
	v_add_u32_e32 v13, 0xfffffc10, v13
	v_lshl_or_b32 v15, v11, 12, v4
	v_cndmask_b32_e64 v4, 0, 1, vcc
	v_cmp_ne_u32_e32 vcc, 0, v6
	v_lshrrev_b32_e32 v19, v12, v16
	v_lshlrev_b32_e32 v10, v10, v18
	v_lshl_or_b32 v17, v13, 12, v6
	v_cndmask_b32_e64 v6, 0, 1, vcc
	v_lshlrev_b32_e32 v12, v12, v19
	v_cmp_ne_u32_e32 vcc, v10, v14
	v_cndmask_b32_e64 v10, 0, 1, vcc
	v_cmp_ne_u32_e32 vcc, v12, v16
	v_cndmask_b32_e64 v12, 0, 1, vcc
	v_or_b32_e32 v10, v18, v10
	v_cmp_gt_i32_e32 vcc, 1, v11
	v_cndmask_b32_e32 v10, v15, v10, vcc
	v_or_b32_e32 v12, v19, v12
	v_cmp_gt_i32_e32 vcc, 1, v13
	v_and_b32_e32 v14, 7, v10
	v_cndmask_b32_e32 v12, v17, v12, vcc
	v_cmp_lt_i32_e32 vcc, 5, v14
	v_cmp_eq_u32_e64 s[0:1], 3, v14
	v_lshrrev_b32_e32 v10, 2, v10
	v_and_b32_e32 v15, 7, v12
	s_or_b64 vcc, s[0:1], vcc
	v_cmp_lt_i32_e64 s[2:3], 5, v15
	v_cmp_eq_u32_e64 s[4:5], 3, v15
	v_addc_co_u32_e32 v10, vcc, 0, v10, vcc
	v_lshrrev_b32_e32 v12, 2, v12
	s_or_b64 vcc, s[4:5], s[2:3]
	v_addc_co_u32_e32 v12, vcc, 0, v12, vcc
	v_cmp_gt_i32_e32 vcc, 31, v11
	v_cndmask_b32_e32 v10, v2, v10, vcc
	v_cmp_gt_i32_e32 vcc, 31, v13
	v_lshl_or_b32 v4, v4, 9, v2
	v_cndmask_b32_e32 v12, v2, v12, vcc
	v_cmp_eq_u32_e32 vcc, s11, v11
	v_lshrrev_b32_e32 v5, 16, v5
	v_lshl_or_b32 v6, v6, 9, v2
	v_cndmask_b32_e32 v4, v10, v4, vcc
	v_cmp_eq_u32_e32 vcc, s11, v13
	v_lshrrev_b32_e32 v7, 16, v7
	v_cndmask_b32_e32 v6, v12, v6, vcc
	v_and_or_b32 v4, v5, s14, v4
	v_and_or_b32 v5, v7, s14, v6
	v_and_b32_e32 v4, 0xffff, v4
	v_lshl_or_b32 v4, v5, 16, v4
	global_store_dword v[8:9], v4, off
	global_load_dword v6, v[0:1], off offset:1424
	v_add_u32_e32 v4, 0x1500, v54
	ds_read2_b32 v[4:5], v4 offset0:36 offset1:196
	v_add_co_u32_e32 v8, vcc, s6, v8
	v_addc_co_u32_e32 v9, vcc, v9, v3, vcc
	s_waitcnt lgkmcnt(0)
	v_lshrrev_b32_e32 v7, 16, v4
	s_waitcnt vmcnt(0)
	v_mul_f16_sdwa v10, v7, v6 dst_sel:DWORD dst_unused:UNUSED_PAD src0_sel:DWORD src1_sel:WORD_1
	v_fma_f16 v10, v4, v6, v10
	v_mul_f16_sdwa v4, v4, v6 dst_sel:DWORD dst_unused:UNUSED_PAD src0_sel:DWORD src1_sel:WORD_1
	v_cvt_f32_f16_e32 v10, v10
	v_fma_f16 v4, v6, v7, -v4
	v_cvt_f32_f16_e32 v4, v4
	v_cvt_f64_f32_e32 v[6:7], v10
	v_cvt_f64_f32_e32 v[10:11], v4
	v_mul_f64 v[6:7], v[6:7], s[12:13]
	v_mul_f64 v[10:11], v[10:11], s[12:13]
	v_and_or_b32 v4, v7, s15, v6
	v_cmp_ne_u32_e32 vcc, 0, v4
	v_and_or_b32 v10, v11, s15, v10
	v_lshrrev_b32_e32 v6, 8, v7
	v_bfe_u32 v12, v7, 20, 11
	v_cndmask_b32_e64 v4, 0, 1, vcc
	v_cmp_ne_u32_e32 vcc, 0, v10
	v_lshrrev_b32_e32 v13, 8, v11
	v_bfe_u32 v14, v11, 20, 11
	v_sub_u32_e32 v15, 0x3f1, v12
	v_cndmask_b32_e64 v10, 0, 1, vcc
	v_and_or_b32 v4, v6, s10, v4
	v_sub_u32_e32 v16, 0x3f1, v14
	v_med3_i32 v6, v15, 0, 13
	v_and_or_b32 v10, v13, s10, v10
	v_or_b32_e32 v15, 0x1000, v4
	v_add_u32_e32 v12, 0xfffffc10, v12
	v_med3_i32 v13, v16, 0, 13
	v_cmp_ne_u32_e32 vcc, 0, v4
	v_or_b32_e32 v17, 0x1000, v10
	v_lshrrev_b32_e32 v19, v6, v15
	v_add_u32_e32 v14, 0xfffffc10, v14
	v_lshl_or_b32 v16, v12, 12, v4
	v_cndmask_b32_e64 v4, 0, 1, vcc
	v_cmp_ne_u32_e32 vcc, 0, v10
	v_lshrrev_b32_e32 v20, v13, v17
	v_lshlrev_b32_e32 v6, v6, v19
	v_lshl_or_b32 v18, v14, 12, v10
	v_cndmask_b32_e64 v10, 0, 1, vcc
	v_lshlrev_b32_e32 v13, v13, v20
	v_cmp_ne_u32_e32 vcc, v6, v15
	v_cndmask_b32_e64 v6, 0, 1, vcc
	v_cmp_ne_u32_e32 vcc, v13, v17
	v_cndmask_b32_e64 v13, 0, 1, vcc
	v_or_b32_e32 v6, v19, v6
	v_cmp_gt_i32_e32 vcc, 1, v12
	v_cndmask_b32_e32 v6, v16, v6, vcc
	v_or_b32_e32 v13, v20, v13
	v_cmp_gt_i32_e32 vcc, 1, v14
	v_and_b32_e32 v15, 7, v6
	v_cndmask_b32_e32 v13, v18, v13, vcc
	v_cmp_lt_i32_e32 vcc, 5, v15
	v_cmp_eq_u32_e64 s[0:1], 3, v15
	v_lshrrev_b32_e32 v6, 2, v6
	v_and_b32_e32 v16, 7, v13
	s_or_b64 vcc, s[0:1], vcc
	v_cmp_lt_i32_e64 s[2:3], 5, v16
	v_cmp_eq_u32_e64 s[4:5], 3, v16
	v_addc_co_u32_e32 v6, vcc, 0, v6, vcc
	v_lshrrev_b32_e32 v13, 2, v13
	s_or_b64 vcc, s[4:5], s[2:3]
	v_addc_co_u32_e32 v13, vcc, 0, v13, vcc
	v_cmp_gt_i32_e32 vcc, 31, v12
	v_cndmask_b32_e32 v6, v2, v6, vcc
	v_cmp_gt_i32_e32 vcc, 31, v14
	v_lshl_or_b32 v4, v4, 9, v2
	v_cndmask_b32_e32 v13, v2, v13, vcc
	v_cmp_eq_u32_e32 vcc, s11, v12
	v_lshrrev_b32_e32 v7, 16, v7
	v_lshl_or_b32 v10, v10, 9, v2
	v_cndmask_b32_e32 v4, v6, v4, vcc
	v_cmp_eq_u32_e32 vcc, s11, v14
	v_lshrrev_b32_e32 v11, 16, v11
	v_cndmask_b32_e32 v6, v13, v10, vcc
	v_and_or_b32 v4, v7, s14, v4
	v_and_or_b32 v6, v11, s14, v6
	v_and_b32_e32 v4, 0xffff, v4
	v_lshl_or_b32 v4, v6, 16, v4
	global_store_dword v[8:9], v4, off
	global_load_dword v0, v[0:1], off offset:2064
	v_lshrrev_b32_e32 v1, 16, v5
	s_waitcnt vmcnt(0)
	v_mul_f16_sdwa v4, v1, v0 dst_sel:DWORD dst_unused:UNUSED_PAD src0_sel:DWORD src1_sel:WORD_1
	v_fma_f16 v4, v5, v0, v4
	v_mul_f16_sdwa v5, v5, v0 dst_sel:DWORD dst_unused:UNUSED_PAD src0_sel:DWORD src1_sel:WORD_1
	v_cvt_f32_f16_e32 v4, v4
	v_fma_f16 v0, v0, v1, -v5
	v_cvt_f32_f16_e32 v5, v0
	v_cvt_f64_f32_e32 v[0:1], v4
	v_cvt_f64_f32_e32 v[4:5], v5
	v_mul_f64 v[0:1], v[0:1], s[12:13]
	v_mul_f64 v[4:5], v[4:5], s[12:13]
	v_and_or_b32 v0, v1, s15, v0
	v_cmp_ne_u32_e32 vcc, 0, v0
	v_and_or_b32 v4, v5, s15, v4
	v_lshrrev_b32_e32 v6, 8, v1
	v_bfe_u32 v7, v1, 20, 11
	v_cndmask_b32_e64 v0, 0, 1, vcc
	v_cmp_ne_u32_e32 vcc, 0, v4
	v_lshrrev_b32_e32 v10, 8, v5
	v_bfe_u32 v11, v5, 20, 11
	v_sub_u32_e32 v12, 0x3f1, v7
	v_cndmask_b32_e64 v4, 0, 1, vcc
	v_and_or_b32 v0, v6, s10, v0
	v_sub_u32_e32 v13, 0x3f1, v11
	v_med3_i32 v6, v12, 0, 13
	v_and_or_b32 v4, v10, s10, v4
	v_or_b32_e32 v12, 0x1000, v0
	v_add_u32_e32 v7, 0xfffffc10, v7
	v_med3_i32 v10, v13, 0, 13
	v_cmp_ne_u32_e32 vcc, 0, v0
	v_or_b32_e32 v14, 0x1000, v4
	v_lshrrev_b32_e32 v16, v6, v12
	v_add_u32_e32 v11, 0xfffffc10, v11
	v_lshl_or_b32 v13, v7, 12, v0
	v_cndmask_b32_e64 v0, 0, 1, vcc
	v_cmp_ne_u32_e32 vcc, 0, v4
	v_lshrrev_b32_e32 v17, v10, v14
	v_lshlrev_b32_e32 v6, v6, v16
	v_lshl_or_b32 v15, v11, 12, v4
	v_cndmask_b32_e64 v4, 0, 1, vcc
	v_lshlrev_b32_e32 v10, v10, v17
	v_cmp_ne_u32_e32 vcc, v6, v12
	v_cndmask_b32_e64 v6, 0, 1, vcc
	v_cmp_ne_u32_e32 vcc, v10, v14
	v_cndmask_b32_e64 v10, 0, 1, vcc
	v_or_b32_e32 v6, v16, v6
	v_cmp_gt_i32_e32 vcc, 1, v7
	v_cndmask_b32_e32 v6, v13, v6, vcc
	v_or_b32_e32 v10, v17, v10
	v_cmp_gt_i32_e32 vcc, 1, v11
	v_and_b32_e32 v12, 7, v6
	v_cndmask_b32_e32 v10, v15, v10, vcc
	v_cmp_lt_i32_e32 vcc, 5, v12
	v_cmp_eq_u32_e64 s[0:1], 3, v12
	v_lshrrev_b32_e32 v6, 2, v6
	v_and_b32_e32 v13, 7, v10
	s_or_b64 vcc, s[0:1], vcc
	v_cmp_lt_i32_e64 s[2:3], 5, v13
	v_cmp_eq_u32_e64 s[4:5], 3, v13
	v_addc_co_u32_e32 v6, vcc, 0, v6, vcc
	v_lshrrev_b32_e32 v10, 2, v10
	s_or_b64 vcc, s[4:5], s[2:3]
	v_addc_co_u32_e32 v10, vcc, 0, v10, vcc
	v_cmp_gt_i32_e32 vcc, 31, v7
	v_cndmask_b32_e32 v6, v2, v6, vcc
	v_cmp_gt_i32_e32 vcc, 31, v11
	v_lshl_or_b32 v0, v0, 9, v2
	v_lshl_or_b32 v4, v4, 9, v2
	v_cndmask_b32_e32 v2, v2, v10, vcc
	v_cmp_eq_u32_e32 vcc, s11, v7
	v_lshrrev_b32_e32 v1, 16, v1
	v_cndmask_b32_e32 v0, v6, v0, vcc
	v_cmp_eq_u32_e32 vcc, s11, v11
	v_lshrrev_b32_e32 v5, 16, v5
	v_cndmask_b32_e32 v2, v2, v4, vcc
	v_and_or_b32 v0, v1, s14, v0
	v_and_or_b32 v1, v5, s14, v2
	v_and_b32_e32 v0, 0xffff, v0
	v_lshl_or_b32 v2, v1, 16, v0
	v_add_co_u32_e32 v0, vcc, s6, v8
	v_addc_co_u32_e32 v1, vcc, v9, v3, vcc
	global_store_dword v[0:1], v2, off
.LBB0_23:
	s_endpgm
	.section	.rodata,"a",@progbits
	.p2align	6, 0x0
	.amdhsa_kernel bluestein_single_back_len1600_dim1_half_op_CI_CI
		.amdhsa_group_segment_fixed_size 12800
		.amdhsa_private_segment_fixed_size 0
		.amdhsa_kernarg_size 104
		.amdhsa_user_sgpr_count 6
		.amdhsa_user_sgpr_private_segment_buffer 1
		.amdhsa_user_sgpr_dispatch_ptr 0
		.amdhsa_user_sgpr_queue_ptr 0
		.amdhsa_user_sgpr_kernarg_segment_ptr 1
		.amdhsa_user_sgpr_dispatch_id 0
		.amdhsa_user_sgpr_flat_scratch_init 0
		.amdhsa_user_sgpr_private_segment_size 0
		.amdhsa_uses_dynamic_stack 0
		.amdhsa_system_sgpr_private_segment_wavefront_offset 0
		.amdhsa_system_sgpr_workgroup_id_x 1
		.amdhsa_system_sgpr_workgroup_id_y 0
		.amdhsa_system_sgpr_workgroup_id_z 0
		.amdhsa_system_sgpr_workgroup_info 0
		.amdhsa_system_vgpr_workitem_id 0
		.amdhsa_next_free_vgpr 126
		.amdhsa_next_free_sgpr 20
		.amdhsa_reserve_vcc 1
		.amdhsa_reserve_flat_scratch 0
		.amdhsa_float_round_mode_32 0
		.amdhsa_float_round_mode_16_64 0
		.amdhsa_float_denorm_mode_32 3
		.amdhsa_float_denorm_mode_16_64 3
		.amdhsa_dx10_clamp 1
		.amdhsa_ieee_mode 1
		.amdhsa_fp16_overflow 0
		.amdhsa_exception_fp_ieee_invalid_op 0
		.amdhsa_exception_fp_denorm_src 0
		.amdhsa_exception_fp_ieee_div_zero 0
		.amdhsa_exception_fp_ieee_overflow 0
		.amdhsa_exception_fp_ieee_underflow 0
		.amdhsa_exception_fp_ieee_inexact 0
		.amdhsa_exception_int_div_zero 0
	.end_amdhsa_kernel
	.text
.Lfunc_end0:
	.size	bluestein_single_back_len1600_dim1_half_op_CI_CI, .Lfunc_end0-bluestein_single_back_len1600_dim1_half_op_CI_CI
                                        ; -- End function
	.section	.AMDGPU.csdata,"",@progbits
; Kernel info:
; codeLenInByte = 28256
; NumSgprs: 24
; NumVgprs: 126
; ScratchSize: 0
; MemoryBound: 0
; FloatMode: 240
; IeeeMode: 1
; LDSByteSize: 12800 bytes/workgroup (compile time only)
; SGPRBlocks: 2
; VGPRBlocks: 31
; NumSGPRsForWavesPerEU: 24
; NumVGPRsForWavesPerEU: 126
; Occupancy: 2
; WaveLimiterHint : 1
; COMPUTE_PGM_RSRC2:SCRATCH_EN: 0
; COMPUTE_PGM_RSRC2:USER_SGPR: 6
; COMPUTE_PGM_RSRC2:TRAP_HANDLER: 0
; COMPUTE_PGM_RSRC2:TGID_X_EN: 1
; COMPUTE_PGM_RSRC2:TGID_Y_EN: 0
; COMPUTE_PGM_RSRC2:TGID_Z_EN: 0
; COMPUTE_PGM_RSRC2:TIDIG_COMP_CNT: 0
	.type	__hip_cuid_6fe0ce9de17f2928,@object ; @__hip_cuid_6fe0ce9de17f2928
	.section	.bss,"aw",@nobits
	.globl	__hip_cuid_6fe0ce9de17f2928
__hip_cuid_6fe0ce9de17f2928:
	.byte	0                               ; 0x0
	.size	__hip_cuid_6fe0ce9de17f2928, 1

	.ident	"AMD clang version 19.0.0git (https://github.com/RadeonOpenCompute/llvm-project roc-6.4.0 25133 c7fe45cf4b819c5991fe208aaa96edf142730f1d)"
	.section	".note.GNU-stack","",@progbits
	.addrsig
	.addrsig_sym __hip_cuid_6fe0ce9de17f2928
	.amdgpu_metadata
---
amdhsa.kernels:
  - .args:
      - .actual_access:  read_only
        .address_space:  global
        .offset:         0
        .size:           8
        .value_kind:     global_buffer
      - .actual_access:  read_only
        .address_space:  global
        .offset:         8
        .size:           8
        .value_kind:     global_buffer
      - .actual_access:  read_only
        .address_space:  global
        .offset:         16
        .size:           8
        .value_kind:     global_buffer
      - .actual_access:  read_only
        .address_space:  global
        .offset:         24
        .size:           8
        .value_kind:     global_buffer
      - .actual_access:  read_only
        .address_space:  global
        .offset:         32
        .size:           8
        .value_kind:     global_buffer
      - .offset:         40
        .size:           8
        .value_kind:     by_value
      - .address_space:  global
        .offset:         48
        .size:           8
        .value_kind:     global_buffer
      - .address_space:  global
        .offset:         56
        .size:           8
        .value_kind:     global_buffer
      - .address_space:  global
        .offset:         64
        .size:           8
        .value_kind:     global_buffer
      - .address_space:  global
        .offset:         72
        .size:           8
        .value_kind:     global_buffer
      - .offset:         80
        .size:           4
        .value_kind:     by_value
      - .address_space:  global
        .offset:         88
        .size:           8
        .value_kind:     global_buffer
      - .address_space:  global
        .offset:         96
        .size:           8
        .value_kind:     global_buffer
    .group_segment_fixed_size: 12800
    .kernarg_segment_align: 8
    .kernarg_segment_size: 104
    .language:       OpenCL C
    .language_version:
      - 2
      - 0
    .max_flat_workgroup_size: 200
    .name:           bluestein_single_back_len1600_dim1_half_op_CI_CI
    .private_segment_fixed_size: 0
    .sgpr_count:     24
    .sgpr_spill_count: 0
    .symbol:         bluestein_single_back_len1600_dim1_half_op_CI_CI.kd
    .uniform_work_group_size: 1
    .uses_dynamic_stack: false
    .vgpr_count:     126
    .vgpr_spill_count: 0
    .wavefront_size: 64
amdhsa.target:   amdgcn-amd-amdhsa--gfx906
amdhsa.version:
  - 1
  - 2
...

	.end_amdgpu_metadata
